;; amdgpu-corpus repo=ROCm/rocFFT kind=compiled arch=gfx906 opt=O3
	.text
	.amdgcn_target "amdgcn-amd-amdhsa--gfx906"
	.amdhsa_code_object_version 6
	.protected	fft_rtc_back_len4096_factors_8_16_4_8_wgs_256_tpt_128_halfLds_dim2_sp_op_CI_CI_unitstride_sbrr_dirReg ; -- Begin function fft_rtc_back_len4096_factors_8_16_4_8_wgs_256_tpt_128_halfLds_dim2_sp_op_CI_CI_unitstride_sbrr_dirReg
	.globl	fft_rtc_back_len4096_factors_8_16_4_8_wgs_256_tpt_128_halfLds_dim2_sp_op_CI_CI_unitstride_sbrr_dirReg
	.p2align	8
	.type	fft_rtc_back_len4096_factors_8_16_4_8_wgs_256_tpt_128_halfLds_dim2_sp_op_CI_CI_unitstride_sbrr_dirReg,@function
fft_rtc_back_len4096_factors_8_16_4_8_wgs_256_tpt_128_halfLds_dim2_sp_op_CI_CI_unitstride_sbrr_dirReg: ; @fft_rtc_back_len4096_factors_8_16_4_8_wgs_256_tpt_128_halfLds_dim2_sp_op_CI_CI_unitstride_sbrr_dirReg
; %bb.0:
	s_load_dwordx2 s[0:1], s[4:5], 0x8
	v_lshrrev_b32_e32 v100, 7, v0
	v_mov_b32_e32 v4, 0
	v_lshl_or_b32 v3, s6, 1, v100
	v_mov_b32_e32 v1, 0
	s_waitcnt lgkmcnt(0)
	s_load_dwordx2 s[0:1], s[0:1], 0x8
	v_mov_b32_e32 v2, 0
	s_waitcnt lgkmcnt(0)
	v_cmp_le_u64_e32 vcc, s[0:1], v[3:4]
	s_and_saveexec_b64 s[2:3], vcc
	s_cbranch_execz .LBB0_2
; %bb.1:
	v_cvt_f32_u32_e32 v1, s0
	s_sub_i32 s6, 0, s0
	v_rcp_iflag_f32_e32 v1, v1
	v_mul_f32_e32 v1, 0x4f7ffffe, v1
	v_cvt_u32_f32_e32 v1, v1
	v_mul_lo_u32 v2, s6, v1
	v_mul_hi_u32 v2, v1, v2
	v_add_u32_e32 v1, v1, v2
	v_mul_hi_u32 v1, v3, v1
	v_mul_lo_u32 v2, v1, s0
	v_add_u32_e32 v5, 1, v1
	v_sub_u32_e32 v2, v3, v2
	v_subrev_u32_e32 v6, s0, v2
	v_cmp_le_u32_e32 vcc, s0, v2
	v_cndmask_b32_e32 v2, v2, v6, vcc
	v_cndmask_b32_e32 v1, v1, v5, vcc
	v_add_u32_e32 v5, 1, v1
	v_cmp_le_u32_e32 vcc, s0, v2
	v_cndmask_b32_e32 v1, v1, v5, vcc
	v_mov_b32_e32 v2, v4
.LBB0_2:
	s_or_b64 exec, exec, s[2:3]
	v_mad_u64_u32 v[4:5], s[2:3], v1, s0, 0
	s_load_dwordx4 s[8:11], s[4:5], 0x18
	s_load_dwordx2 s[6:7], s[4:5], 0x0
	v_mad_u64_u32 v[5:6], s[0:1], v1, s1, v[5:6]
	v_sub_co_u32_e64 v68, s[2:3], v3, v4
	s_waitcnt lgkmcnt(0)
	v_cmp_gt_u64_e32 vcc, s[10:11], v[1:2]
	v_cmp_le_u64_e64 s[0:1], s[10:11], v[1:2]
	v_mov_b32_e32 v2, v5
	v_subb_co_u32_e64 v69, s[2:3], 0, v2, s[2:3]
                                        ; implicit-def: $sgpr10_sgpr11
                                        ; implicit-def: $vgpr66
                                        ; implicit-def: $vgpr67
                                        ; implicit-def: $vgpr70
                                        ; implicit-def: $vgpr86
                                        ; implicit-def: $vgpr71
                                        ; implicit-def: $vgpr78
                                        ; implicit-def: $vgpr85
                                        ; implicit-def: $vgpr93
                                        ; implicit-def: $vgpr72
                                        ; implicit-def: $vgpr79
                                        ; implicit-def: $vgpr87
                                        ; implicit-def: $vgpr94
                                        ; implicit-def: $vgpr73
                                        ; implicit-def: $vgpr80
                                        ; implicit-def: $vgpr88
                                        ; implicit-def: $vgpr95
                                        ; implicit-def: $vgpr74
                                        ; implicit-def: $vgpr81
                                        ; implicit-def: $vgpr89
                                        ; implicit-def: $vgpr96
                                        ; implicit-def: $vgpr75
                                        ; implicit-def: $vgpr82
                                        ; implicit-def: $vgpr90
                                        ; implicit-def: $vgpr97
                                        ; implicit-def: $vgpr76
                                        ; implicit-def: $vgpr83
                                        ; implicit-def: $vgpr91
                                        ; implicit-def: $vgpr98
                                        ; implicit-def: $vgpr77
                                        ; implicit-def: $vgpr84
                                        ; implicit-def: $vgpr92
                                        ; implicit-def: $vgpr99
	s_and_saveexec_b64 s[2:3], s[0:1]
	s_xor_b64 s[0:1], exec, s[2:3]
	s_cbranch_execz .LBB0_4
; %bb.3:
	v_and_b32_e32 v66, 0x7f, v0
	v_or_b32_e32 v67, 0x80, v66
	v_or_b32_e32 v70, 0x100, v66
	;; [unrolled: 1-line block ×31, first 2 shown]
	s_mov_b64 s[10:11], 0
.LBB0_4:
	s_or_saveexec_b64 s[2:3], s[0:1]
	v_mov_b32_e32 v63, s11
	v_mov_b32_e32 v6, s10
	;; [unrolled: 1-line block ×32, first 2 shown]
                                        ; implicit-def: $vgpr3
                                        ; implicit-def: $vgpr13
                                        ; implicit-def: $vgpr21
                                        ; implicit-def: $vgpr19
                                        ; implicit-def: $vgpr9
                                        ; implicit-def: $vgpr5
                                        ; implicit-def: $vgpr39
                                        ; implicit-def: $vgpr27
                                        ; implicit-def: $vgpr23
                                        ; implicit-def: $vgpr31
                                        ; implicit-def: $vgpr59
                                        ; implicit-def: $vgpr55
                                        ; implicit-def: $vgpr49
                                        ; implicit-def: $vgpr57
                                        ; implicit-def: $vgpr53
                                        ; implicit-def: $vgpr45
	s_xor_b64 exec, exec, s[2:3]
	s_cbranch_execz .LBB0_6
; %bb.5:
	s_load_dwordx2 s[0:1], s[4:5], 0x10
	v_and_b32_e32 v66, 0x7f, v0
	v_or_b32_e32 v71, 0x200, v66
	v_or_b32_e32 v72, 0x400, v66
	;; [unrolled: 1-line block ×3, first 2 shown]
	s_waitcnt lgkmcnt(0)
	s_load_dwordx4 s[12:15], s[0:1], 0x8
	s_load_dwordx2 s[10:11], s[4:5], 0x50
	v_or_b32_e32 v74, 0x800, v66
	v_or_b32_e32 v75, 0xa00, v66
	v_or_b32_e32 v76, 0xc00, v66
	s_waitcnt lgkmcnt(0)
	v_mad_u64_u32 v[2:3], s[0:1], s14, v1, 0
	v_mad_u64_u32 v[4:5], s[0:1], s12, v68, 0
	v_mul_lo_u32 v8, s13, v68
	v_mul_lo_u32 v9, s12, v69
	v_mad_u64_u32 v[6:7], s[0:1], s15, v1, v[3:4]
	v_mov_b32_e32 v7, s11
	v_add3_u32 v5, v5, v9, v8
	v_mov_b32_e32 v3, v6
	v_lshlrev_b64 v[2:3], 3, v[2:3]
	v_lshlrev_b64 v[4:5], 3, v[4:5]
	v_add_co_u32_e64 v2, s[0:1], s10, v2
	v_addc_co_u32_e64 v3, s[0:1], v7, v3, s[0:1]
	v_add_co_u32_e64 v67, s[0:1], v2, v4
	v_addc_co_u32_e64 v70, s[0:1], v3, v5, s[0:1]
	v_lshlrev_b32_e32 v2, 3, v66
	v_add_co_u32_e64 v40, s[0:1], v67, v2
	v_addc_co_u32_e64 v41, s[0:1], 0, v70, s[0:1]
	v_lshlrev_b32_e32 v2, 3, v71
	v_add_co_u32_e64 v4, s[0:1], v67, v2
	v_addc_co_u32_e64 v5, s[0:1], 0, v70, s[0:1]
	v_lshlrev_b32_e32 v2, 3, v72
	v_add_co_u32_e64 v8, s[0:1], v67, v2
	v_addc_co_u32_e64 v9, s[0:1], 0, v70, s[0:1]
	v_lshlrev_b32_e32 v2, 3, v73
	v_add_co_u32_e64 v10, s[0:1], v67, v2
	v_addc_co_u32_e64 v11, s[0:1], 0, v70, s[0:1]
	v_lshlrev_b32_e32 v2, 3, v74
	v_add_co_u32_e64 v12, s[0:1], v67, v2
	v_addc_co_u32_e64 v13, s[0:1], 0, v70, s[0:1]
	global_load_dwordx2 v[16:17], v[4:5], off
	global_load_dwordx2 v[6:7], v[8:9], off
	;; [unrolled: 1-line block ×4, first 2 shown]
	v_lshlrev_b32_e32 v4, 3, v75
	v_add_co_u32_e64 v4, s[0:1], v67, v4
	v_addc_co_u32_e64 v5, s[0:1], 0, v70, s[0:1]
	v_lshlrev_b32_e32 v8, 3, v76
	v_add_co_u32_e64 v8, s[0:1], v67, v8
	v_or_b32_e32 v77, 0xe00, v66
	v_addc_co_u32_e64 v9, s[0:1], 0, v70, s[0:1]
	v_lshlrev_b32_e32 v10, 3, v77
	v_add_co_u32_e64 v22, s[0:1], v67, v10
	v_or_b32_e32 v78, 0x280, v66
	v_addc_co_u32_e64 v23, s[0:1], 0, v70, s[0:1]
	v_lshlrev_b32_e32 v10, 3, v78
	v_add_co_u32_e64 v24, s[0:1], v67, v10
	v_or_b32_e32 v79, 0x480, v66
	v_addc_co_u32_e64 v25, s[0:1], 0, v70, s[0:1]
	global_load_dwordx2 v[12:13], v[4:5], off
	global_load_dwordx2 v[20:21], v[8:9], off
	global_load_dwordx2 v[18:19], v[22:23], off
	global_load_dwordx2 v[10:11], v[24:25], off
	v_lshlrev_b32_e32 v4, 3, v79
	v_add_co_u32_e64 v22, s[0:1], v67, v4
	v_or_b32_e32 v80, 0x680, v66
	v_addc_co_u32_e64 v23, s[0:1], 0, v70, s[0:1]
	v_lshlrev_b32_e32 v4, 3, v80
	v_add_co_u32_e64 v24, s[0:1], v67, v4
	v_or_b32_e32 v81, 0x880, v66
	v_addc_co_u32_e64 v25, s[0:1], 0, v70, s[0:1]
	v_lshlrev_b32_e32 v4, 3, v81
	v_add_co_u32_e64 v26, s[0:1], v67, v4
	v_or_b32_e32 v82, 0xa80, v66
	v_addc_co_u32_e64 v27, s[0:1], 0, v70, s[0:1]
	v_lshlrev_b32_e32 v4, 3, v82
	v_add_co_u32_e64 v28, s[0:1], v67, v4
	v_or_b32_e32 v83, 0xc80, v66
	v_addc_co_u32_e64 v29, s[0:1], 0, v70, s[0:1]
	global_load_dwordx2 v[36:37], v[22:23], off
	global_load_dwordx2 v[32:33], v[24:25], off
	global_load_dwordx2 v[8:9], v[26:27], off
	global_load_dwordx2 v[4:5], v[28:29], off
	v_lshlrev_b32_e32 v22, 3, v83
	v_add_co_u32_e64 v22, s[0:1], v67, v22
	v_or_b32_e32 v84, 0xe80, v66
	;; [unrolled: 20-line block ×4, first 2 shown]
	v_addc_co_u32_e64 v49, s[0:1], 0, v70, s[0:1]
	global_load_dwordx2 v[62:63], v[40:41], off
	global_load_dwordx2 v[64:65], v[40:41], off offset:1024
	global_load_dwordx2 v[60:61], v[40:41], off offset:2048
	;; [unrolled: 1-line block ×3, first 2 shown]
	v_lshlrev_b32_e32 v40, 3, v93
	v_add_co_u32_e64 v52, s[0:1], v67, v40
	v_or_b32_e32 v94, 0x580, v66
	v_addc_co_u32_e64 v53, s[0:1], 0, v70, s[0:1]
	v_lshlrev_b32_e32 v40, 3, v94
	v_add_co_u32_e64 v54, s[0:1], v67, v40
	v_or_b32_e32 v95, 0x780, v0
	v_addc_co_u32_e64 v55, s[0:1], 0, v70, s[0:1]
	;; [unrolled: 4-line block ×3, first 2 shown]
	global_load_dwordx2 v[58:59], v[48:49], off
	global_load_dwordx2 v[40:41], v[52:53], off
	;; [unrolled: 1-line block ×4, first 2 shown]
	v_lshlrev_b32_e32 v48, 3, v96
	v_add_co_u32_e64 v101, s[0:1], v67, v48
	v_or_b32_e32 v97, 0xb80, v0
	v_addc_co_u32_e64 v102, s[0:1], 0, v70, s[0:1]
	v_lshlrev_b32_e32 v48, 3, v97
	v_add_co_u32_e64 v103, s[0:1], v67, v48
	v_or_b32_e32 v98, 0xd80, v66
	v_addc_co_u32_e64 v104, s[0:1], 0, v70, s[0:1]
	;; [unrolled: 4-line block ×3, first 2 shown]
	v_lshlrev_b32_e32 v48, 3, v99
	v_add_co_u32_e64 v107, s[0:1], v67, v48
	v_addc_co_u32_e64 v108, s[0:1], 0, v70, s[0:1]
	global_load_dwordx2 v[54:55], v[101:102], off
	global_load_dwordx2 v[48:49], v[103:104], off
	;; [unrolled: 1-line block ×4, first 2 shown]
	v_or_b32_e32 v67, 0x80, v66
	v_or_b32_e32 v70, 0x100, v66
	;; [unrolled: 1-line block ×3, first 2 shown]
.LBB0_6:
	s_or_b64 exec, exec, s[2:3]
	s_waitcnt vmcnt(11)
	v_sub_f32_e32 v2, v62, v2
	v_sub_f32_e32 v3, v63, v3
	;; [unrolled: 1-line block ×6, first 2 shown]
	v_fma_f32 v62, v62, 2.0, -v2
	v_fma_f32 v63, v63, 2.0, -v3
	;; [unrolled: 1-line block ×4, first 2 shown]
	v_sub_f32_e32 v13, v17, v13
	v_fma_f32 v16, v16, 2.0, -v12
	v_sub_f32_e32 v19, v15, v19
	v_fma_f32 v14, v14, 2.0, -v18
	v_fma_f32 v17, v17, 2.0, -v13
	;; [unrolled: 1-line block ×3, first 2 shown]
	v_sub_f32_e32 v101, v62, v6
	v_sub_f32_e32 v102, v63, v7
	;; [unrolled: 1-line block ×4, first 2 shown]
	v_fma_f32 v7, v62, 2.0, -v101
	v_fma_f32 v62, v63, 2.0, -v102
	v_add_f32_e32 v63, v2, v21
	v_sub_f32_e32 v21, v17, v15
	v_fma_f32 v6, v16, 2.0, -v20
	v_fma_f32 v2, v2, 2.0, -v63
	;; [unrolled: 1-line block ×4, first 2 shown]
	v_add_f32_e32 v104, v12, v19
	v_sub_f32_e32 v105, v13, v18
	v_sub_f32_e32 v6, v7, v6
	v_fma_f32 v15, v12, 2.0, -v104
	v_fma_f32 v17, v13, 2.0, -v105
	v_sub_f32_e32 v12, v62, v14
	v_fma_f32 v14, v7, 2.0, -v6
	v_mov_b32_e32 v7, v2
	v_mov_b32_e32 v13, v3
	v_fmac_f32_e32 v7, 0xbf3504f3, v15
	v_fmac_f32_e32 v13, 0xbf3504f3, v17
	;; [unrolled: 1-line block ×4, first 2 shown]
	v_fma_f32 v15, v2, 2.0, -v7
	v_fma_f32 v17, v3, 2.0, -v13
	v_add_f32_e32 v18, v101, v21
	v_mov_b32_e32 v21, v103
	s_waitcnt vmcnt(10)
	v_sub_f32_e32 v2, v64, v8
	v_sub_f32_e32 v3, v65, v9
	v_sub_f32_e32 v38, v36, v38
	v_sub_f32_e32 v39, v37, v39
	v_sub_f32_e32 v5, v11, v5
	v_sub_f32_e32 v45, v33, v45
	v_mov_b32_e32 v19, v63
	v_fmac_f32_e32 v21, 0x3f3504f3, v105
	v_fma_f32 v8, v64, 2.0, -v2
	v_fma_f32 v9, v65, 2.0, -v3
	v_fma_f32 v36, v36, 2.0, -v38
	v_fma_f32 v37, v37, 2.0, -v39
	v_fma_f32 v11, v11, 2.0, -v5
	v_fma_f32 v33, v33, 2.0, -v45
	v_sub_f32_e32 v20, v102, v20
	v_fmac_f32_e32 v19, 0x3f3504f3, v104
	v_fmac_f32_e32 v21, 0xbf3504f3, v104
	v_sub_f32_e32 v64, v8, v36
	v_sub_f32_e32 v37, v9, v37
	;; [unrolled: 1-line block ×3, first 2 shown]
	v_fma_f32 v16, v62, 2.0, -v12
	v_fma_f32 v62, v101, 2.0, -v18
	;; [unrolled: 1-line block ×4, first 2 shown]
	v_sub_f32_e32 v4, v10, v4
	v_sub_f32_e32 v44, v32, v44
	v_fma_f32 v36, v8, 2.0, -v64
	v_fma_f32 v9, v9, 2.0, -v37
	v_sub_f32_e32 v103, v3, v38
	v_fma_f32 v8, v11, 2.0, -v104
	v_fmac_f32_e32 v19, 0x3f3504f3, v105
	v_fma_f32 v10, v10, 2.0, -v4
	v_fma_f32 v32, v32, 2.0, -v44
	;; [unrolled: 1-line block ×3, first 2 shown]
	v_sub_f32_e32 v105, v5, v44
	v_sub_f32_e32 v8, v9, v8
	v_add_f32_e32 v65, v2, v39
	v_sub_f32_e32 v39, v10, v32
	v_add_f32_e32 v45, v4, v45
	v_fma_f32 v5, v5, 2.0, -v105
	v_fma_f32 v32, v9, 2.0, -v8
	v_mov_b32_e32 v9, v38
	v_fma_f32 v2, v2, 2.0, -v65
	v_fma_f32 v3, v10, 2.0, -v39
	;; [unrolled: 1-line block ×3, first 2 shown]
	v_fmac_f32_e32 v9, 0xbf3504f3, v5
	v_sub_f32_e32 v3, v36, v3
	v_mov_b32_e32 v4, v2
	v_fmac_f32_e32 v9, 0xbf3504f3, v11
	v_fma_f32 v10, v36, 2.0, -v3
	v_fmac_f32_e32 v4, 0xbf3504f3, v11
	v_fma_f32 v33, v38, 2.0, -v9
	v_add_f32_e32 v36, v64, v104
	v_sub_f32_e32 v38, v37, v39
	v_fmac_f32_e32 v4, 0x3f3504f3, v5
	v_fma_f32 v44, v64, 2.0, -v36
	v_fma_f32 v64, v37, 2.0, -v38
	v_mov_b32_e32 v37, v65
	v_mov_b32_e32 v39, v103
	v_fma_f32 v11, v2, 2.0, -v4
	v_fmac_f32_e32 v37, 0x3f3504f3, v45
	v_fmac_f32_e32 v39, 0x3f3504f3, v105
	s_waitcnt vmcnt(9)
	v_sub_f32_e32 v2, v60, v26
	v_sub_f32_e32 v5, v61, v27
	;; [unrolled: 1-line block ×6, first 2 shown]
	s_waitcnt vmcnt(7)
	v_sub_f32_e32 v58, v50, v58
	v_sub_f32_e32 v59, v51, v59
	v_fmac_f32_e32 v37, 0x3f3504f3, v105
	v_fmac_f32_e32 v39, 0xbf3504f3, v45
	v_fma_f32 v26, v60, 2.0, -v2
	v_fma_f32 v27, v61, 2.0, -v5
	;; [unrolled: 1-line block ×10, first 2 shown]
	v_sub_f32_e32 v60, v26, v28
	v_sub_f32_e32 v61, v27, v29
	v_add_f32_e32 v103, v2, v31
	v_sub_f32_e32 v104, v5, v30
	v_sub_f32_e32 v31, v24, v50
	;; [unrolled: 1-line block ×3, first 2 shown]
	v_fma_f32 v26, v26, 2.0, -v60
	v_fma_f32 v27, v27, 2.0, -v61
	;; [unrolled: 1-line block ×6, first 2 shown]
	v_add_f32_e32 v51, v22, v59
	v_sub_f32_e32 v105, v23, v58
	v_fma_f32 v29, v22, 2.0, -v51
	v_fma_f32 v50, v23, 2.0, -v105
	v_sub_f32_e32 v22, v26, v24
	v_sub_f32_e32 v24, v27, v25
	v_mov_b32_e32 v23, v2
	v_mov_b32_e32 v25, v5
	v_fmac_f32_e32 v23, 0xbf3504f3, v29
	v_fmac_f32_e32 v25, 0xbf3504f3, v50
	;; [unrolled: 1-line block ×4, first 2 shown]
	v_sub_f32_e32 v58, v61, v31
	v_mov_b32_e32 v31, v103
	v_mov_b32_e32 v59, v104
	v_fma_f32 v28, v27, 2.0, -v24
	v_fma_f32 v27, v2, 2.0, -v23
	;; [unrolled: 1-line block ×3, first 2 shown]
	v_fmac_f32_e32 v31, 0x3f3504f3, v51
	v_fmac_f32_e32 v59, 0x3f3504f3, v105
	s_waitcnt vmcnt(3)
	v_sub_f32_e32 v2, v34, v54
	v_sub_f32_e32 v5, v35, v55
	s_waitcnt vmcnt(1)
	v_sub_f32_e32 v54, v46, v56
	v_sub_f32_e32 v55, v47, v57
	;; [unrolled: 1-line block ×4, first 2 shown]
	s_waitcnt vmcnt(0)
	v_sub_f32_e32 v52, v42, v52
	v_sub_f32_e32 v53, v43, v53
	v_add_f32_e32 v30, v60, v30
	v_fmac_f32_e32 v31, 0x3f3504f3, v105
	v_fmac_f32_e32 v59, 0xbf3504f3, v51
	v_fma_f32 v34, v34, 2.0, -v2
	v_fma_f32 v35, v35, 2.0, -v5
	;; [unrolled: 1-line block ×12, first 2 shown]
	v_sub_f32_e32 v56, v34, v46
	v_sub_f32_e32 v57, v35, v47
	;; [unrolled: 1-line block ×5, first 2 shown]
	v_fma_f32 v46, v34, 2.0, -v56
	v_fma_f32 v35, v35, 2.0, -v57
	v_add_f32_e32 v55, v2, v55
	v_fma_f32 v5, v5, 2.0, -v103
	v_fma_f32 v34, v40, 2.0, -v54
	;; [unrolled: 1-line block ×3, first 2 shown]
	v_sub_f32_e32 v106, v49, v52
	v_fma_f32 v2, v2, 2.0, -v55
	v_add_f32_e32 v105, v48, v53
	v_fma_f32 v47, v49, 2.0, -v106
	v_sub_f32_e32 v34, v46, v34
	v_sub_f32_e32 v40, v35, v40
	v_mov_b32_e32 v41, v5
	v_fma_f32 v43, v48, 2.0, -v105
	v_fma_f32 v42, v46, 2.0, -v34
	;; [unrolled: 1-line block ×3, first 2 shown]
	v_mov_b32_e32 v35, v2
	v_fmac_f32_e32 v41, 0xbf3504f3, v47
	v_fmac_f32_e32 v35, 0xbf3504f3, v43
	;; [unrolled: 1-line block ×4, first 2 shown]
	v_fma_f32 v47, v5, 2.0, -v41
	v_lshlrev_b32_e32 v5, 14, v100
	v_fma_f32 v43, v2, 2.0, -v35
	v_add_u32_e32 v2, 0, v5
	v_fma_f32 v63, v63, 2.0, -v19
	v_mov_b32_e32 v49, v55
	v_lshl_add_u32 v100, v66, 5, v2
	s_load_dwordx4 s[0:3], s[8:9], 0x8
	v_fmac_f32_e32 v49, 0x3f3504f3, v105
	v_mov_b32_e32 v53, v103
	ds_write2_b64 v100, v[14:15], v[62:63] offset1:1
	ds_write2_b64 v100, v[6:7], v[18:19] offset0:2 offset1:3
	v_lshl_add_u32 v14, v67, 5, v2
	v_fma_f32 v26, v26, 2.0, -v22
	v_add_f32_e32 v48, v56, v104
	v_fmac_f32_e32 v53, 0x3f3504f3, v106
	v_fmac_f32_e32 v49, 0x3f3504f3, v106
	ds_write2_b64 v14, v[10:11], v[44:45] offset1:1
	ds_write2_b64 v14, v[3:4], v[36:37] offset0:2 offset1:3
	v_lshl_add_u32 v3, v70, 5, v2
	v_lshlrev_b32_e32 v4, 2, v66
	v_sub_f32_e32 v52, v57, v54
	v_fma_f32 v54, v56, 2.0, -v48
	v_fmac_f32_e32 v53, 0xbf3504f3, v105
	v_fma_f32 v55, v55, 2.0, -v49
	ds_write2_b64 v3, v[26:27], v[50:51] offset1:1
	ds_write2_b64 v3, v[22:23], v[30:31] offset0:2 offset1:3
	v_lshl_add_u32 v10, v86, 5, v2
	v_add_u32_e32 v51, v2, v4
	s_movk_i32 s8, 0xffe4
	v_add3_u32 v50, 0, v4, v5
	v_fma_f32 v56, v57, 2.0, -v52
	v_fma_f32 v57, v103, 2.0, -v53
	ds_write2_b64 v10, v[42:43], v[54:55] offset1:1
	ds_write2_b64 v10, v[34:35], v[48:49] offset0:2 offset1:3
	s_waitcnt lgkmcnt(0)
	s_barrier
	v_mad_i32_i24 v34, v70, s8, v3
	ds_read2st64_b32 v[4:5], v50 offset0:8 offset1:10
	ds_read2st64_b32 v[35:36], v50 offset0:12 offset1:14
	;; [unrolled: 1-line block ×14, first 2 shown]
	v_lshl_add_u32 v6, v67, 2, v2
	v_mad_i32_i24 v7, v86, s8, v10
	ds_read_b32 v117, v51
	ds_read_b32 v118, v34
	;; [unrolled: 1-line block ×4, first 2 shown]
	s_waitcnt lgkmcnt(0)
	s_barrier
	ds_write2_b64 v100, v[16:17], v[101:102] offset1:1
	ds_write2_b64 v100, v[12:13], v[20:21] offset0:2 offset1:3
	ds_write2_b64 v14, v[32:33], v[64:65] offset1:1
	ds_write2_b64 v14, v[8:9], v[38:39] offset0:2 offset1:3
	;; [unrolled: 2-line block ×4, first 2 shown]
	v_and_b32_e32 v3, 7, v0
	v_mul_u32_u24_e32 v8, 15, v3
	v_lshlrev_b32_e32 v102, 3, v8
	s_waitcnt lgkmcnt(0)
	s_barrier
	global_load_dwordx4 v[8:11], v102, s[6:7] offset:16
	global_load_dwordx4 v[12:15], v102, s[6:7] offset:32
	;; [unrolled: 1-line block ×3, first 2 shown]
	global_load_dwordx4 v[20:23], v102, s[6:7]
	global_load_dwordx4 v[24:27], v102, s[6:7] offset:64
	global_load_dwordx4 v[28:31], v102, s[6:7] offset:80
	ds_read2st64_b32 v[32:33], v50 offset0:8 offset1:10
	ds_read2st64_b32 v[38:39], v50 offset0:12 offset1:14
	;; [unrolled: 1-line block ×9, first 2 shown]
	v_lshlrev_b32_e32 v0, 4, v0
	s_movk_i32 s8, 0x780
	v_and_or_b32 v0, v0, s8, v3
	v_lshl_add_u32 v0, v0, 2, v2
	s_movk_i32 s8, 0xf80
	v_lshl_add_u32 v72, v72, 2, v2
	v_lshl_add_u32 v79, v79, 2, v2
	;; [unrolled: 1-line block ×8, first 2 shown]
	s_waitcnt vmcnt(5) lgkmcnt(7)
	v_mul_f32_e32 v121, v38, v9
	v_fmac_f32_e32 v121, v35, v8
	v_mul_f32_e32 v35, v35, v9
	v_mul_f32_e32 v124, v39, v9
	v_fma_f32 v122, v38, v8, -v35
	v_fmac_f32_e32 v124, v36, v8
	v_mul_f32_e32 v9, v36, v9
	global_load_dwordx2 v[100:101], v102, s[6:7] offset:112
	global_load_dwordx4 v[35:38], v102, s[6:7] offset:96
	s_waitcnt lgkmcnt(6)
	v_mul_f32_e32 v123, v40, v11
	v_fmac_f32_e32 v123, v42, v10
	v_mul_f32_e32 v42, v42, v11
	v_mul_f32_e32 v102, v41, v11
	v_fmac_f32_e32 v102, v43, v10
	v_mul_f32_e32 v11, v43, v11
	v_fma_f32 v40, v40, v10, -v42
	s_waitcnt vmcnt(6) lgkmcnt(5)
	v_mul_f32_e32 v42, v46, v13
	v_mul_f32_e32 v43, v44, v13
	v_fmac_f32_e32 v42, v44, v12
	v_fma_f32 v43, v46, v12, -v43
	s_waitcnt lgkmcnt(4)
	v_mul_f32_e32 v44, v52, v15
	v_mul_f32_e32 v46, v47, v13
	v_fmac_f32_e32 v44, v48, v14
	v_fmac_f32_e32 v46, v45, v12
	v_mul_f32_e32 v13, v45, v13
	v_mul_f32_e32 v45, v48, v15
	;; [unrolled: 1-line block ×4, first 2 shown]
	v_fmac_f32_e32 v48, v49, v14
	v_fma_f32 v45, v52, v14, -v45
	v_fma_f32 v49, v53, v14, -v15
	s_waitcnt vmcnt(5) lgkmcnt(3)
	v_mul_f32_e32 v52, v56, v17
	v_mul_f32_e32 v53, v54, v17
	v_fmac_f32_e32 v52, v54, v16
	v_fma_f32 v53, v56, v16, -v53
	s_waitcnt lgkmcnt(2)
	v_mul_f32_e32 v54, v58, v19
	v_mul_f32_e32 v56, v57, v17
	;; [unrolled: 1-line block ×3, first 2 shown]
	v_fma_f32 v39, v39, v8, -v9
	ds_read2st64_b32 v[8:9], v50 offset0:44 offset1:46
	v_fma_f32 v41, v41, v10, -v11
	ds_read2st64_b32 v[10:11], v50 offset0:48 offset1:50
	;; [unrolled: 2-line block ×3, first 2 shown]
	ds_read2st64_b32 v[14:15], v50 offset0:56 offset1:58
	v_fmac_f32_e32 v54, v62, v18
	v_fmac_f32_e32 v56, v55, v16
	v_mul_f32_e32 v55, v62, v19
	v_fma_f32 v57, v57, v16, -v17
	v_mul_f32_e32 v62, v59, v19
	v_mul_f32_e32 v16, v63, v19
	ds_read_b32 v19, v51
	ds_read_b32 v17, v34
	v_fmac_f32_e32 v62, v63, v18
	v_fma_f32 v55, v58, v18, -v55
	v_fma_f32 v18, v59, v18, -v16
	s_waitcnt vmcnt(4)
	v_mul_f32_e32 v16, v118, v21
	s_waitcnt lgkmcnt(0)
	v_mul_f32_e32 v63, v17, v21
	ds_read_b32 v58, v6
	ds_read_b32 v59, v7
	v_fmac_f32_e32 v63, v118, v20
	v_fma_f32 v118, v17, v20, -v16
	s_waitcnt vmcnt(3)
	v_mul_f32_e32 v16, v103, v25
	v_mul_f32_e32 v125, v60, v25
	v_fma_f32 v60, v60, v24, -v16
	v_mul_f32_e32 v126, v61, v25
	v_mul_f32_e32 v16, v104, v25
	v_fmac_f32_e32 v125, v103, v24
	v_mul_f32_e32 v103, v64, v27
	v_fmac_f32_e32 v126, v104, v24
	v_mul_f32_e32 v25, v105, v27
	v_fma_f32 v24, v61, v24, -v16
	v_mul_f32_e32 v61, v65, v27
	v_mul_f32_e32 v27, v106, v27
	v_fmac_f32_e32 v103, v105, v26
	v_fmac_f32_e32 v61, v106, v26
	v_fma_f32 v25, v64, v26, -v25
	v_fma_f32 v26, v65, v26, -v27
	v_mul_f32_e32 v27, v32, v23
	v_mul_f32_e32 v65, v33, v23
	v_fmac_f32_e32 v27, v4, v22
	v_mul_f32_e32 v4, v4, v23
	s_waitcnt vmcnt(2)
	v_mul_f32_e32 v64, v107, v29
	v_fmac_f32_e32 v65, v5, v22
	v_mul_f32_e32 v5, v5, v23
	v_mul_f32_e32 v23, v109, v31
	ds_read2st64_b32 v[16:17], v50 offset0:60 offset1:62
	v_fma_f32 v4, v32, v22, -v4
	v_mul_f32_e32 v32, v8, v29
	v_fma_f32 v8, v8, v28, -v64
	v_mul_f32_e32 v64, v10, v31
	v_fma_f32 v10, v10, v30, -v23
	s_waitcnt lgkmcnt(1)
	v_mul_f32_e32 v23, v59, v21
	v_mul_f32_e32 v21, v120, v21
	v_fmac_f32_e32 v23, v120, v20
	v_fma_f32 v20, v59, v20, -v21
	v_mul_f32_e32 v59, v9, v29
	v_mul_f32_e32 v29, v108, v29
	v_fmac_f32_e32 v32, v107, v28
	v_fmac_f32_e32 v59, v108, v28
	v_fma_f32 v9, v9, v28, -v29
	v_mul_f32_e32 v28, v11, v31
	v_mul_f32_e32 v29, v110, v31
	v_fmac_f32_e32 v64, v109, v30
	v_fma_f32 v5, v33, v22, -v5
	s_waitcnt vmcnt(0)
	v_mul_f32_e32 v22, v12, v36
	v_mul_f32_e32 v21, v111, v36
	v_fmac_f32_e32 v28, v110, v30
	v_fma_f32 v11, v11, v30, -v29
	v_mul_f32_e32 v29, v13, v36
	v_mul_f32_e32 v30, v112, v36
	v_fmac_f32_e32 v22, v111, v35
	v_fma_f32 v12, v12, v35, -v21
	;; [unrolled: 4-line block ×4, first 2 shown]
	v_mul_f32_e32 v30, v15, v38
	v_fma_f32 v15, v15, v37, -v31
	s_waitcnt lgkmcnt(0)
	v_mul_f32_e32 v31, v17, v101
	v_fma_f32 v17, v17, v100, -v35
	v_sub_f32_e32 v35, v117, v54
	v_sub_f32_e32 v36, v19, v55
	;; [unrolled: 1-line block ×4, first 2 shown]
	v_fma_f32 v54, v123, 2.0, -v38
	v_fma_f32 v40, v40, 2.0, -v10
	v_sub_f32_e32 v55, v27, v103
	v_sub_f32_e32 v25, v4, v25
	;; [unrolled: 1-line block ×4, first 2 shown]
	v_add_f32_e32 v10, v35, v10
	v_sub_f32_e32 v38, v36, v38
	v_mul_f32_e32 v104, v115, v101
	v_fmac_f32_e32 v30, v114, v37
	v_fma_f32 v37, v117, 2.0, -v35
	v_fma_f32 v19, v19, 2.0, -v36
	;; [unrolled: 1-line block ×6, first 2 shown]
	v_add_f32_e32 v14, v55, v14
	v_sub_f32_e32 v21, v25, v21
	v_mul_f32_e32 v33, v16, v101
	v_fma_f32 v16, v16, v100, -v104
	v_fma_f32 v27, v27, 2.0, -v55
	v_fma_f32 v4, v4, 2.0, -v25
	;; [unrolled: 1-line block ×4, first 2 shown]
	v_mov_b32_e32 v104, v35
	v_mov_b32_e32 v105, v36
	v_fmac_f32_e32 v33, v115, v100
	v_fmac_f32_e32 v104, 0xbf3504f3, v55
	;; [unrolled: 1-line block ×3, first 2 shown]
	v_sub_f32_e32 v64, v63, v125
	v_sub_f32_e32 v22, v42, v22
	;; [unrolled: 1-line block ×6, first 2 shown]
	v_fmac_f32_e32 v104, 0x3f3504f3, v25
	v_fmac_f32_e32 v105, 0xbf3504f3, v55
	v_fma_f32 v63, v63, 2.0, -v64
	v_sub_f32_e32 v12, v43, v12
	v_fma_f32 v42, v42, 2.0, -v22
	v_fma_f32 v101, v121, 2.0, -v32
	;; [unrolled: 1-line block ×5, first 2 shown]
	v_add_f32_e32 v36, v54, v45
	v_sub_f32_e32 v60, v118, v60
	v_fma_f32 v43, v43, 2.0, -v12
	v_sub_f32_e32 v8, v122, v8
	v_sub_f32_e32 v16, v53, v16
	v_fma_f32 v37, v37, 2.0, -v54
	v_fma_f32 v4, v4, 2.0, -v45
	v_sub_f32_e32 v42, v63, v42
	v_add_f32_e32 v12, v64, v12
	v_sub_f32_e32 v52, v101, v52
	v_fma_f32 v45, v54, 2.0, -v36
	v_mov_b32_e32 v54, v10
	v_fmac_f32_e32 v31, v116, v100
	v_fma_f32 v100, v118, 2.0, -v60
	v_fma_f32 v103, v122, 2.0, -v8
	;; [unrolled: 1-line block ×6, first 2 shown]
	v_add_f32_e32 v16, v32, v16
	v_fmac_f32_e32 v54, 0x3f3504f3, v14
	v_mov_b32_e32 v55, v38
	v_sub_f32_e32 v43, v100, v43
	v_sub_f32_e32 v22, v60, v22
	;; [unrolled: 1-line block ×4, first 2 shown]
	v_fma_f32 v32, v32, 2.0, -v16
	v_fmac_f32_e32 v55, 0x3f3504f3, v21
	v_fmac_f32_e32 v54, 0x3f3504f3, v21
	v_sub_f32_e32 v21, v63, v101
	v_mov_b32_e32 v101, v64
	v_fma_f32 v100, v100, 2.0, -v43
	v_fma_f32 v60, v60, 2.0, -v22
	;; [unrolled: 1-line block ×4, first 2 shown]
	v_fmac_f32_e32 v55, 0xbf3504f3, v14
	v_fmac_f32_e32 v101, 0xbf3504f3, v32
	v_sub_f32_e32 v40, v19, v40
	v_sub_f32_e32 v44, v27, v44
	v_fma_f32 v14, v38, 2.0, -v55
	v_sub_f32_e32 v38, v100, v103
	v_mov_b32_e32 v103, v60
	v_fmac_f32_e32 v101, 0x3f3504f3, v8
	v_fma_f32 v19, v19, 2.0, -v40
	v_fma_f32 v27, v27, 2.0, -v44
	v_fmac_f32_e32 v103, 0xbf3504f3, v8
	v_fma_f32 v8, v64, 2.0, -v101
	v_mov_b32_e32 v64, v22
	v_sub_f32_e32 v27, v37, v27
	v_sub_f32_e32 v4, v19, v4
	v_fmac_f32_e32 v103, 0xbf3504f3, v32
	v_fmac_f32_e32 v64, 0x3f3504f3, v33
	v_fma_f32 v37, v37, 2.0, -v27
	v_fma_f32 v19, v19, 2.0, -v4
	;; [unrolled: 1-line block ×5, first 2 shown]
	v_mov_b32_e32 v60, v12
	v_fmac_f32_e32 v64, 0xbf3504f3, v16
	v_fmac_f32_e32 v60, 0x3f3504f3, v16
	v_fma_f32 v16, v22, 2.0, -v64
	v_sub_f32_e32 v22, v37, v63
	v_sub_f32_e32 v63, v19, v100
	v_fma_f32 v100, v19, 2.0, -v63
	v_mov_b32_e32 v19, v25
	v_fmac_f32_e32 v19, 0xbf6c835e, v8
	v_mov_b32_e32 v106, v35
	v_add_f32_e32 v53, v42, v53
	v_fmac_f32_e32 v106, 0xbf6c835e, v32
	v_fmac_f32_e32 v19, 0x3ec3ef15, v32
	v_sub_f32_e32 v44, v40, v44
	v_sub_f32_e32 v52, v43, v52
	v_fma_f32 v42, v42, 2.0, -v53
	v_fmac_f32_e32 v106, 0xbec3ef15, v8
	v_fma_f32 v8, v25, 2.0, -v19
	v_mov_b32_e32 v25, v45
	v_fma_f32 v40, v40, 2.0, -v44
	v_fma_f32 v43, v43, 2.0, -v52
	v_fmac_f32_e32 v25, 0xbf3504f3, v42
	v_mov_b32_e32 v108, v40
	v_fmac_f32_e32 v25, 0x3f3504f3, v43
	v_fmac_f32_e32 v108, 0xbf3504f3, v43
	v_fma_f32 v32, v45, 2.0, -v25
	v_sub_f32_e32 v45, v4, v21
	v_fma_f32 v10, v10, 2.0, -v54
	v_fmac_f32_e32 v60, 0x3f3504f3, v33
	v_fmac_f32_e32 v108, 0xbf3504f3, v42
	v_mov_b32_e32 v42, v14
	v_fma_f32 v109, v4, 2.0, -v45
	v_mov_b32_e32 v4, v104
	v_mov_b32_e32 v21, v36
	v_fma_f32 v12, v12, 2.0, -v60
	v_fma_f32 v107, v35, 2.0, -v106
	v_mov_b32_e32 v35, v10
	v_fmac_f32_e32 v42, 0xbec3ef15, v16
	v_fmac_f32_e32 v4, 0x3ec3ef15, v101
	v_mov_b32_e32 v110, v105
	v_fmac_f32_e32 v21, 0x3f3504f3, v53
	v_fmac_f32_e32 v35, 0xbec3ef15, v12
	;; [unrolled: 1-line block ×3, first 2 shown]
	v_add_f32_e32 v12, v27, v38
	v_fmac_f32_e32 v110, 0x3ec3ef15, v103
	v_fmac_f32_e32 v4, 0x3f6c835e, v103
	v_mov_b32_e32 v103, v44
	v_fmac_f32_e32 v21, 0x3f3504f3, v52
	v_fma_f32 v43, v14, 2.0, -v42
	v_fma_f32 v14, v27, 2.0, -v12
	v_fmac_f32_e32 v103, 0x3f3504f3, v52
	v_fma_f32 v27, v36, 2.0, -v21
	v_mov_b32_e32 v36, v54
	v_mov_b32_e32 v52, v55
	v_fmac_f32_e32 v36, 0x3f6c835e, v60
	v_fmac_f32_e32 v52, 0x3f6c835e, v64
	v_sub_f32_e32 v38, v119, v62
	v_sub_f32_e32 v11, v41, v11
	v_fmac_f32_e32 v36, 0x3ec3ef15, v64
	v_fmac_f32_e32 v52, 0xbec3ef15, v60
	v_fma_f32 v41, v41, 2.0, -v11
	v_sub_f32_e32 v60, v65, v61
	v_sub_f32_e32 v15, v49, v15
	v_add_f32_e32 v11, v38, v11
	v_fma_f32 v33, v37, 2.0, -v22
	v_fma_f32 v37, v54, 2.0, -v36
	v_sub_f32_e32 v18, v58, v18
	v_fma_f32 v54, v119, 2.0, -v38
	v_sub_f32_e32 v28, v102, v28
	v_sub_f32_e32 v26, v5, v26
	;; [unrolled: 1-line block ×3, first 2 shown]
	v_fma_f32 v49, v49, 2.0, -v15
	v_fma_f32 v38, v38, 2.0, -v11
	v_add_f32_e32 v15, v60, v15
	v_fmac_f32_e32 v103, 0xbf3504f3, v53
	v_fma_f32 v53, v55, 2.0, -v52
	v_fma_f32 v55, v58, 2.0, -v18
	;; [unrolled: 1-line block ×5, first 2 shown]
	v_sub_f32_e32 v28, v18, v28
	v_sub_f32_e32 v30, v26, v30
	v_fma_f32 v60, v60, 2.0, -v15
	v_mov_b32_e32 v65, v38
	v_fma_f32 v5, v5, 2.0, -v26
	v_fma_f32 v18, v18, 2.0, -v28
	;; [unrolled: 1-line block ×3, first 2 shown]
	v_fmac_f32_e32 v65, 0xbf3504f3, v60
	v_sub_f32_e32 v24, v20, v24
	v_sub_f32_e32 v13, v47, v13
	v_sub_f32_e32 v9, v39, v9
	v_sub_f32_e32 v17, v57, v17
	v_sub_f32_e32 v58, v54, v58
	v_sub_f32_e32 v49, v5, v49
	v_mov_b32_e32 v102, v18
	v_fmac_f32_e32 v65, 0x3f3504f3, v26
	v_sub_f32_e32 v62, v23, v126
	v_fma_f32 v20, v20, 2.0, -v24
	v_fma_f32 v47, v47, 2.0, -v13
	;; [unrolled: 1-line block ×4, first 2 shown]
	v_fmac_f32_e32 v102, 0xbf3504f3, v26
	v_fma_f32 v26, v38, 2.0, -v65
	v_add_f32_e32 v38, v58, v49
	v_sub_f32_e32 v29, v46, v29
	v_sub_f32_e32 v59, v124, v59
	;; [unrolled: 1-line block ×3, first 2 shown]
	v_fma_f32 v54, v54, 2.0, -v58
	v_fma_f32 v5, v5, 2.0, -v49
	v_sub_f32_e32 v47, v20, v47
	v_add_f32_e32 v13, v62, v13
	v_sub_f32_e32 v57, v39, v57
	v_fma_f32 v49, v58, 2.0, -v38
	v_mov_b32_e32 v58, v11
	v_fma_f32 v23, v23, 2.0, -v62
	v_fma_f32 v46, v46, 2.0, -v29
	;; [unrolled: 1-line block ×7, first 2 shown]
	v_add_f32_e32 v17, v59, v17
	v_fmac_f32_e32 v102, 0xbf3504f3, v60
	v_fmac_f32_e32 v58, 0x3f3504f3, v15
	v_mov_b32_e32 v60, v28
	v_sub_f32_e32 v41, v55, v41
	v_sub_f32_e32 v48, v61, v48
	;; [unrolled: 1-line block ×6, first 2 shown]
	v_fma_f32 v59, v59, 2.0, -v17
	v_fmac_f32_e32 v60, 0x3f3504f3, v30
	v_fmac_f32_e32 v58, 0x3f3504f3, v30
	v_sub_f32_e32 v30, v20, v39
	v_mov_b32_e32 v39, v62
	v_fma_f32 v55, v55, 2.0, -v41
	v_fma_f32 v61, v61, 2.0, -v48
	v_fma_f32 v23, v23, 2.0, -v46
	v_fma_f32 v24, v24, 2.0, -v29
	v_fma_f32 v64, v64, 2.0, -v56
	v_fma_f32 v9, v9, 2.0, -v31
	v_fmac_f32_e32 v60, 0xbf3504f3, v15
	v_fmac_f32_e32 v39, 0xbf3504f3, v59
	v_sub_f32_e32 v61, v54, v61
	v_sub_f32_e32 v5, v55, v5
	v_fma_f32 v15, v28, 2.0, -v60
	v_sub_f32_e32 v28, v23, v64
	v_mov_b32_e32 v64, v24
	v_fmac_f32_e32 v39, 0x3f3504f3, v9
	v_fma_f32 v54, v54, 2.0, -v61
	v_fma_f32 v55, v55, 2.0, -v5
	;; [unrolled: 1-line block ×4, first 2 shown]
	v_fmac_f32_e32 v64, 0xbf3504f3, v9
	v_fma_f32 v9, v62, 2.0, -v39
	v_mov_b32_e32 v62, v29
	v_fmac_f32_e32 v35, 0x3f6c835e, v16
	v_fma_f32 v16, v104, 2.0, -v4
	v_fma_f32 v18, v18, 2.0, -v102
	v_fmac_f32_e32 v64, 0xbf3504f3, v59
	v_fmac_f32_e32 v62, 0x3f3504f3, v31
	v_sub_f32_e32 v23, v54, v23
	v_sub_f32_e32 v104, v55, v20
	v_sub_f32_e32 v48, v41, v48
	v_fma_f32 v24, v24, 2.0, -v64
	v_mov_b32_e32 v59, v13
	v_fmac_f32_e32 v62, 0xbf3504f3, v17
	v_fma_f32 v20, v54, 2.0, -v23
	v_fma_f32 v54, v55, 2.0, -v104
	v_mov_b32_e32 v55, v18
	v_fma_f32 v41, v41, 2.0, -v48
	v_sub_f32_e32 v56, v47, v56
	v_fmac_f32_e32 v59, 0x3f3504f3, v17
	v_fma_f32 v17, v29, 2.0, -v62
	v_mov_b32_e32 v29, v26
	v_fmac_f32_e32 v55, 0xbf6c835e, v24
	v_fmac_f32_e32 v110, 0xbf6c835e, v101
	v_add_f32_e32 v57, v46, v57
	v_fma_f32 v47, v47, 2.0, -v56
	v_fmac_f32_e32 v29, 0xbf6c835e, v9
	v_fmac_f32_e32 v55, 0xbec3ef15, v9
	v_mov_b32_e32 v111, v41
	v_fma_f32 v101, v105, 2.0, -v110
	v_fma_f32 v11, v11, 2.0, -v58
	;; [unrolled: 1-line block ×3, first 2 shown]
	v_fmac_f32_e32 v59, 0x3f3504f3, v31
	v_fmac_f32_e32 v29, 0x3ec3ef15, v24
	v_fma_f32 v105, v18, 2.0, -v55
	v_mov_b32_e32 v18, v49
	v_fmac_f32_e32 v111, 0xbf3504f3, v47
	v_fma_f32 v13, v13, 2.0, -v59
	v_fma_f32 v9, v26, 2.0, -v29
	v_fmac_f32_e32 v18, 0xbf3504f3, v46
	v_fmac_f32_e32 v111, 0xbf3504f3, v46
	v_mov_b32_e32 v26, v11
	v_mov_b32_e32 v46, v15
	v_fmac_f32_e32 v26, 0xbec3ef15, v13
	v_fmac_f32_e32 v46, 0xbec3ef15, v17
	;; [unrolled: 1-line block ×4, first 2 shown]
	v_add_f32_e32 v13, v61, v30
	v_mov_b32_e32 v17, v65
	v_mov_b32_e32 v30, v38
	v_fmac_f32_e32 v18, 0x3f3504f3, v47
	v_fma_f32 v47, v15, 2.0, -v46
	v_fma_f32 v15, v61, 2.0, -v13
	v_fmac_f32_e32 v17, 0x3ec3ef15, v39
	v_mov_b32_e32 v61, v102
	v_fmac_f32_e32 v30, 0x3f3504f3, v57
	v_fmac_f32_e32 v61, 0x3ec3ef15, v64
	;; [unrolled: 1-line block ×3, first 2 shown]
	v_mov_b32_e32 v64, v48
	v_fmac_f32_e32 v30, 0x3f3504f3, v56
	v_fma_f32 v10, v10, 2.0, -v35
	v_fmac_f32_e32 v64, 0x3f3504f3, v56
	v_fma_f32 v31, v38, 2.0, -v30
	v_mov_b32_e32 v38, v58
	v_mov_b32_e32 v56, v60
	s_barrier
	ds_write2_b32 v0, v33, v8 offset1:8
	ds_write2_b32 v0, v32, v10 offset0:16 offset1:24
	ds_write2_b32 v0, v14, v16 offset0:32 offset1:40
	;; [unrolled: 1-line block ×7, first 2 shown]
	v_lshlrev_b32_e32 v4, 4, v67
	v_fmac_f32_e32 v38, 0x3f6c835e, v59
	v_fmac_f32_e32 v56, 0x3f6c835e, v62
	v_and_or_b32 v3, v4, s8, v3
	v_fma_f32 v24, v49, 2.0, -v18
	v_sub_f32_e32 v49, v5, v28
	v_fmac_f32_e32 v61, 0xbf6c835e, v39
	v_fma_f32 v28, v65, 2.0, -v17
	v_fmac_f32_e32 v64, 0xbf3504f3, v57
	v_fmac_f32_e32 v38, 0x3ec3ef15, v62
	;; [unrolled: 1-line block ×3, first 2 shown]
	v_lshl_add_u32 v8, v3, 2, v2
	v_fma_f32 v40, v40, 2.0, -v108
	v_fma_f32 v44, v44, 2.0, -v103
	;; [unrolled: 1-line block ×9, first 2 shown]
	ds_write2_b32 v8, v20, v9 offset1:8
	ds_write2_b32 v8, v24, v11 offset0:16 offset1:24
	ds_write2_b32 v8, v15, v28 offset0:32 offset1:40
	;; [unrolled: 1-line block ×7, first 2 shown]
	s_waitcnt lgkmcnt(0)
	s_barrier
	ds_read_b32 v112, v51
	ds_read2st64_b32 v[3:4], v50 offset0:16 offset1:18
	ds_read2st64_b32 v[12:13], v50 offset0:32 offset1:34
	;; [unrolled: 1-line block ×3, first 2 shown]
	ds_read_b32 v113, v7
	ds_read_b32 v114, v6
	;; [unrolled: 1-line block ×3, first 2 shown]
	ds_read2st64_b32 v[16:17], v50 offset0:20 offset1:22
	ds_read2st64_b32 v[18:19], v50 offset0:36 offset1:38
	;; [unrolled: 1-line block ×11, first 2 shown]
	s_waitcnt lgkmcnt(0)
	s_barrier
	ds_write2_b32 v0, v100, v107 offset1:8
	ds_write2_b32 v0, v40, v43 offset0:16 offset1:24
	ds_write2_b32 v0, v109, v101 offset0:32 offset1:40
	;; [unrolled: 1-line block ×7, first 2 shown]
	ds_write2_b32 v8, v54, v105 offset1:8
	ds_write2_b32 v8, v41, v47 offset0:16 offset1:24
	ds_write2_b32 v8, v5, v39 offset0:32 offset1:40
	;; [unrolled: 1-line block ×7, first 2 shown]
	v_mul_u32_u24_e32 v0, 3, v66
	v_lshlrev_b32_e32 v0, 3, v0
	s_waitcnt lgkmcnt(0)
	s_barrier
	global_load_dwordx4 v[8:11], v0, s[6:7] offset:960
	global_load_dwordx2 v[39:40], v0, s[6:7] offset:976
	ds_read_b32 v0, v51
	ds_read2st64_b32 v[41:42], v50 offset0:16 offset1:18
	ds_read2st64_b32 v[43:44], v50 offset0:32 offset1:34
	ds_read2st64_b32 v[45:46], v50 offset0:48 offset1:50
	ds_read_b32 v5, v7
	ds_read_b32 v49, v6
	;; [unrolled: 1-line block ×3, first 2 shown]
	ds_read2st64_b32 v[47:48], v50 offset0:20 offset1:22
	ds_read2st64_b32 v[52:53], v50 offset0:36 offset1:38
	ds_read2st64_b32 v[54:55], v50 offset0:52 offset1:54
	ds_read2st64_b32 v[56:57], v50 offset0:8 offset1:10
	ds_read2st64_b32 v[58:59], v50 offset0:24 offset1:26
	ds_read2st64_b32 v[60:61], v50 offset0:40 offset1:42
	ds_read2st64_b32 v[62:63], v50 offset0:56 offset1:58
	ds_read2st64_b32 v[64:65], v50 offset0:12 offset1:14
	ds_read2st64_b32 v[100:101], v50 offset0:28 offset1:30
	ds_read2st64_b32 v[102:103], v50 offset0:44 offset1:46
	ds_read2st64_b32 v[104:105], v50 offset0:60 offset1:62
	s_waitcnt vmcnt(0) lgkmcnt(0)
	s_barrier
	v_mul_f32_e32 v107, v41, v9
	v_fmac_f32_e32 v107, v3, v8
	v_mul_f32_e32 v3, v3, v9
	v_fma_f32 v3, v41, v8, -v3
	v_mul_f32_e32 v41, v43, v11
	v_fmac_f32_e32 v41, v12, v10
	v_mul_f32_e32 v12, v12, v11
	v_fma_f32 v12, v43, v10, -v12
	v_mul_f32_e32 v43, v45, v40
	v_fmac_f32_e32 v43, v14, v39
	v_mul_f32_e32 v14, v14, v40
	v_fma_f32 v14, v45, v39, -v14
	v_mul_f32_e32 v45, v42, v9
	v_fmac_f32_e32 v45, v4, v8
	v_mul_f32_e32 v4, v4, v9
	v_fma_f32 v4, v42, v8, -v4
	v_mul_f32_e32 v42, v44, v11
	v_fmac_f32_e32 v42, v13, v10
	v_mul_f32_e32 v13, v13, v11
	v_fma_f32 v13, v44, v10, -v13
	v_mul_f32_e32 v44, v46, v40
	v_fmac_f32_e32 v44, v15, v39
	v_mul_f32_e32 v15, v15, v40
	v_fma_f32 v15, v46, v39, -v15
	v_mul_f32_e32 v46, v47, v9
	v_fmac_f32_e32 v46, v16, v8
	v_mul_f32_e32 v16, v16, v9
	v_fma_f32 v16, v47, v8, -v16
	v_mul_f32_e32 v47, v52, v11
	v_fmac_f32_e32 v47, v18, v10
	v_mul_f32_e32 v18, v18, v11
	v_fma_f32 v18, v52, v10, -v18
	v_mul_f32_e32 v52, v54, v40
	v_fmac_f32_e32 v52, v20, v39
	v_mul_f32_e32 v20, v20, v40
	v_fma_f32 v20, v54, v39, -v20
	v_mul_f32_e32 v54, v48, v9
	v_fmac_f32_e32 v54, v17, v8
	v_mul_f32_e32 v17, v17, v9
	v_fma_f32 v17, v48, v8, -v17
	v_mul_f32_e32 v48, v53, v11
	v_fmac_f32_e32 v48, v19, v10
	v_mul_f32_e32 v19, v19, v11
	v_fma_f32 v19, v53, v10, -v19
	v_mul_f32_e32 v53, v55, v40
	v_fmac_f32_e32 v53, v21, v39
	v_mul_f32_e32 v21, v21, v40
	v_fma_f32 v21, v55, v39, -v21
	v_mul_f32_e32 v55, v58, v9
	v_fmac_f32_e32 v55, v24, v8
	v_mul_f32_e32 v24, v24, v9
	v_fma_f32 v24, v58, v8, -v24
	v_mul_f32_e32 v58, v60, v11
	v_fmac_f32_e32 v58, v26, v10
	v_mul_f32_e32 v26, v26, v11
	v_fma_f32 v26, v60, v10, -v26
	v_mul_f32_e32 v60, v62, v40
	v_fmac_f32_e32 v60, v28, v39
	v_mul_f32_e32 v28, v28, v40
	v_fma_f32 v28, v62, v39, -v28
	v_mul_f32_e32 v62, v59, v9
	v_fmac_f32_e32 v62, v25, v8
	v_mul_f32_e32 v25, v25, v9
	v_fma_f32 v25, v59, v8, -v25
	v_mul_f32_e32 v59, v61, v11
	v_fmac_f32_e32 v59, v27, v10
	v_mul_f32_e32 v27, v27, v11
	v_fma_f32 v27, v61, v10, -v27
	v_mul_f32_e32 v61, v63, v40
	v_fmac_f32_e32 v61, v29, v39
	v_mul_f32_e32 v29, v29, v40
	v_fma_f32 v29, v63, v39, -v29
	v_mul_f32_e32 v63, v100, v9
	v_fmac_f32_e32 v63, v32, v8
	v_mul_f32_e32 v32, v32, v9
	v_fma_f32 v32, v100, v8, -v32
	v_mul_f32_e32 v100, v102, v11
	v_fmac_f32_e32 v100, v35, v10
	v_mul_f32_e32 v35, v35, v11
	v_fma_f32 v35, v102, v10, -v35
	v_mul_f32_e32 v102, v104, v40
	v_fmac_f32_e32 v102, v37, v39
	v_mul_f32_e32 v37, v37, v40
	v_fma_f32 v37, v104, v39, -v37
	v_mul_f32_e32 v104, v101, v9
	v_mul_f32_e32 v9, v33, v9
	v_fmac_f32_e32 v104, v33, v8
	v_fma_f32 v8, v101, v8, -v9
	v_mul_f32_e32 v9, v103, v11
	v_mul_f32_e32 v11, v36, v11
	v_fmac_f32_e32 v9, v36, v10
	v_fma_f32 v10, v103, v10, -v11
	;; [unrolled: 4-line block ×3, first 2 shown]
	v_sub_f32_e32 v12, v0, v12
	v_sub_f32_e32 v39, v107, v43
	;; [unrolled: 1-line block ×6, first 2 shown]
	v_fma_f32 v0, v0, 2.0, -v12
	v_fma_f32 v103, v12, 2.0, -v101
	v_sub_f32_e32 v12, v114, v42
	v_fma_f32 v41, v49, 2.0, -v13
	v_sub_f32_e32 v42, v45, v44
	v_fma_f32 v4, v4, 2.0, -v15
	v_fma_f32 v40, v107, 2.0, -v39
	;; [unrolled: 1-line block ×4, first 2 shown]
	v_sub_f32_e32 v105, v41, v4
	v_sub_f32_e32 v108, v13, v42
	;; [unrolled: 1-line block ×5, first 2 shown]
	v_fma_f32 v107, v41, 2.0, -v105
	v_fma_f32 v109, v13, 2.0, -v108
	v_sub_f32_e32 v13, v115, v47
	v_fma_f32 v41, v106, 2.0, -v18
	v_sub_f32_e32 v42, v46, v52
	v_fma_f32 v16, v16, 2.0, -v20
	v_fma_f32 v4, v39, 2.0, -v43
	;; [unrolled: 1-line block ×4, first 2 shown]
	v_sub_f32_e32 v106, v41, v16
	v_sub_f32_e32 v111, v18, v42
	;; [unrolled: 1-line block ×4, first 2 shown]
	v_fma_f32 v38, v112, 2.0, -v36
	v_sub_f32_e32 v44, v39, v44
	v_fma_f32 v110, v41, 2.0, -v106
	v_fma_f32 v112, v18, 2.0, -v111
	v_sub_f32_e32 v18, v113, v48
	v_fma_f32 v5, v5, 2.0, -v19
	v_sub_f32_e32 v41, v54, v53
	v_fma_f32 v17, v17, 2.0, -v21
	v_fma_f32 v16, v39, 2.0, -v44
	;; [unrolled: 1-line block ×4, first 2 shown]
	v_sub_f32_e32 v113, v5, v17
	v_sub_f32_e32 v42, v39, v42
	v_fma_f32 v114, v5, 2.0, -v113
	v_add_f32_e32 v5, v18, v21
	v_sub_f32_e32 v21, v19, v41
	v_sub_f32_e32 v26, v56, v26
	;; [unrolled: 1-line block ×3, first 2 shown]
	v_fma_f32 v17, v39, 2.0, -v42
	v_fma_f32 v115, v19, 2.0, -v21
	v_sub_f32_e32 v19, v22, v58
	v_fma_f32 v39, v56, 2.0, -v26
	v_sub_f32_e32 v41, v55, v60
	;; [unrolled: 2-line block ×3, first 2 shown]
	v_sub_f32_e32 v46, v62, v61
	v_sub_f32_e32 v35, v64, v35
	;; [unrolled: 1-line block ×3, first 2 shown]
	v_fma_f32 v22, v22, 2.0, -v19
	v_fma_f32 v45, v55, 2.0, -v41
	v_sub_f32_e32 v24, v39, v24
	v_sub_f32_e32 v29, v25, v29
	v_fma_f32 v47, v62, 2.0, -v46
	v_sub_f32_e32 v58, v27, v46
	v_fma_f32 v46, v64, 2.0, -v35
	v_fma_f32 v32, v32, 2.0, -v37
	v_sub_f32_e32 v14, v3, v14
	v_sub_f32_e32 v40, v38, v40
	v_add_f32_e32 v15, v12, v15
	v_add_f32_e32 v20, v13, v20
	v_sub_f32_e32 v45, v22, v45
	v_fma_f32 v55, v39, 2.0, -v24
	v_sub_f32_e32 v56, v26, v41
	v_sub_f32_e32 v39, v23, v59
	v_fma_f32 v41, v57, 2.0, -v27
	v_fma_f32 v25, v25, 2.0, -v29
	v_sub_f32_e32 v32, v46, v32
	v_sub_f32_e32 v10, v65, v10
	v_fma_f32 v3, v3, 2.0, -v14
	v_fma_f32 v38, v38, 2.0, -v40
	v_add_f32_e32 v14, v36, v14
	v_fma_f32 v12, v12, 2.0, -v15
	v_fma_f32 v13, v13, 2.0, -v20
	;; [unrolled: 1-line block ×4, first 2 shown]
	v_add_f32_e32 v28, v19, v28
	v_fma_f32 v23, v23, 2.0, -v39
	v_sub_f32_e32 v25, v41, v25
	v_fma_f32 v59, v46, 2.0, -v32
	v_fma_f32 v46, v65, 2.0, -v10
	v_lshl_add_u32 v64, v71, 2, v2
	v_lshl_add_u32 v65, v78, 2, v2
	;; [unrolled: 1-line block ×7, first 2 shown]
	v_fma_f32 v36, v36, 2.0, -v14
	v_fma_f32 v19, v19, 2.0, -v28
	v_sub_f32_e32 v47, v23, v47
	v_fma_f32 v57, v41, 2.0, -v25
	v_sub_f32_e32 v41, v30, v100
	v_sub_f32_e32 v48, v63, v102
	ds_write_b32 v50, v38
	ds_write_b32 v6, v36
	ds_write_b32 v34, v40
	ds_write_b32 v7, v14
	ds_write_b32 v64, v4
	ds_write_b32 v65, v12
	ds_write_b32 v71, v43
	ds_write_b32 v78, v15
	ds_write_b32 v72, v16
	ds_write_b32 v79, v13
	ds_write_b32 v85, v44
	ds_write_b32 v87, v20
	ds_write_b32 v73, v17
	ds_write_b32 v80, v18
	ds_write_b32 v88, v42
	ds_write_b32 v93, v5
	ds_write_b32 v74, v22
	v_lshl_add_u32 v22, v81, 2, v2
	v_lshl_add_u32 v81, v89, 2, v2
	;; [unrolled: 1-line block ×3, first 2 shown]
	v_fma_f32 v23, v23, 2.0, -v47
	v_add_f32_e32 v29, v39, v29
	v_fma_f32 v30, v30, 2.0, -v41
	v_fma_f32 v49, v63, 2.0, -v48
	v_sub_f32_e32 v9, v31, v9
	v_sub_f32_e32 v11, v104, v11
	ds_write_b32 v22, v19
	ds_write_b32 v81, v45
	;; [unrolled: 1-line block ×3, first 2 shown]
	v_lshl_add_u32 v28, v75, 2, v2
	v_fma_f32 v39, v39, 2.0, -v29
	v_sub_f32_e32 v49, v30, v49
	v_sub_f32_e32 v60, v35, v48
	v_fma_f32 v31, v31, 2.0, -v9
	v_sub_f32_e32 v33, v8, v33
	v_fma_f32 v48, v104, 2.0, -v11
	ds_write_b32 v28, v23
	v_lshl_add_u32 v23, v82, 2, v2
	v_lshl_add_u32 v75, v90, 2, v2
	v_lshl_add_u32 v82, v97, 2, v2
	v_fma_f32 v30, v30, 2.0, -v49
	v_add_f32_e32 v37, v41, v37
	v_fma_f32 v8, v8, 2.0, -v33
	v_sub_f32_e32 v48, v31, v48
	v_add_f32_e32 v33, v9, v33
	ds_write_b32 v23, v39
	ds_write_b32 v75, v47
	;; [unrolled: 1-line block ×3, first 2 shown]
	v_lshl_add_u32 v29, v76, 2, v2
	v_fma_f32 v41, v41, 2.0, -v37
	v_sub_f32_e32 v61, v46, v8
	v_fma_f32 v8, v31, 2.0, -v48
	v_sub_f32_e32 v62, v10, v11
	v_fma_f32 v9, v9, 2.0, -v33
	ds_write_b32 v29, v30
	v_lshl_add_u32 v30, v83, 2, v2
	v_lshl_add_u32 v76, v91, 2, v2
	;; [unrolled: 1-line block ×5, first 2 shown]
	v_fma_f32 v31, v46, 2.0, -v61
	v_fma_f32 v63, v10, 2.0, -v62
	ds_write_b32 v30, v41
	ds_write_b32 v76, v49
	;; [unrolled: 1-line block ×7, first 2 shown]
	s_waitcnt lgkmcnt(0)
	s_barrier
	ds_read_b32 v52, v51
	ds_read2st64_b32 v[12:13], v50 offset0:8 offset1:10
	ds_read2st64_b32 v[8:9], v50 offset0:16 offset1:18
	;; [unrolled: 1-line block ×7, first 2 shown]
	ds_read_b32 v20, v7
	ds_read_b32 v53, v6
	;; [unrolled: 1-line block ×3, first 2 shown]
	ds_read2st64_b32 v[42:43], v50 offset0:12 offset1:14
	ds_read2st64_b32 v[38:39], v50 offset0:20 offset1:22
	;; [unrolled: 1-line block ×7, first 2 shown]
	v_sub_f32_e32 v3, v0, v3
	v_fma_f32 v0, v0, 2.0, -v3
	v_fma_f32 v26, v26, 2.0, -v56
	;; [unrolled: 1-line block ×4, first 2 shown]
	s_waitcnt lgkmcnt(0)
	s_barrier
	ds_write_b32 v50, v0
	ds_write_b32 v6, v103
	;; [unrolled: 1-line block ×32, first 2 shown]
	s_waitcnt lgkmcnt(0)
	s_barrier
	s_and_saveexec_b64 s[8:9], vcc
	s_cbranch_execz .LBB0_8
; %bb.7:
	v_mul_i32_i24_e32 v2, 7, v86
	v_mov_b32_e32 v3, 0
	v_lshlrev_b64 v[21:22], 3, v[2:3]
	v_mov_b32_e32 v65, s7
	v_add_co_u32_e32 v25, vcc, s6, v21
	v_addc_co_u32_e32 v26, vcc, v65, v22, vcc
	global_load_dwordx4 v[21:24], v[25:26], off offset:4048
	global_load_dwordx4 v[55:58], v[25:26], off offset:4032
	;; [unrolled: 1-line block ×3, first 2 shown]
	global_load_dwordx2 v[32:33], v[25:26], off offset:4080
	v_mul_i32_i24_e32 v2, 7, v70
	ds_read2st64_b32 v[63:64], v50 offset0:36 offset1:38
	ds_read2st64_b32 v[84:85], v50 offset0:20 offset1:22
	ds_read2st64_b32 v[86:87], v50 offset0:52 offset1:54
	ds_read2st64_b32 v[88:89], v50 offset0:12 offset1:14
	ds_read2st64_b32 v[90:91], v50 offset0:44 offset1:46
	ds_read2st64_b32 v[92:93], v50 offset0:28 offset1:30
	ds_read2st64_b32 v[94:95], v50 offset0:60 offset1:62
	ds_read_b32 v26, v7
	ds_read_b32 v101, v6
	v_lshlrev_b64 v[6:7], 3, v[2:3]
	v_mul_lo_u32 v0, s1, v68
	v_add_co_u32_e32 v6, vcc, s6, v6
	v_addc_co_u32_e32 v7, vcc, v65, v7, vcc
	v_mul_lo_u32 v25, s0, v69
	v_mad_u64_u32 v[28:29], s[0:1], s0, v68, 0
	global_load_dwordx2 v[96:97], v[6:7], off offset:4080
	global_load_dwordx4 v[68:71], v[6:7], off offset:4064
	global_load_dwordx4 v[72:75], v[6:7], off offset:4048
	;; [unrolled: 1-line block ×3, first 2 shown]
	v_mad_u64_u32 v[30:31], s[0:1], s2, v1, 0
	v_add3_u32 v29, v29, v25, v0
	s_load_dwordx2 s[4:5], s[4:5], 0x58
	v_mov_b32_e32 v0, v31
	v_mad_u64_u32 v[0:1], s[0:1], s3, v1, v[0:1]
	v_lshlrev_b64 v[28:29], 3, v[28:29]
	s_movk_i32 s0, 0xf000
	v_mov_b32_e32 v31, v0
	v_lshlrev_b64 v[30:31], 3, v[30:31]
	ds_read_b32 v103, v51
	s_waitcnt vmcnt(7)
	v_mul_f32_e32 v0, v37, v24
	s_waitcnt vmcnt(6) lgkmcnt(0)
	v_mul_f32_e32 v2, v58, v85
	s_waitcnt vmcnt(5)
	v_mul_f32_e32 v1, v62, v87
	v_mul_f32_e32 v6, v43, v56
	;; [unrolled: 1-line block ×4, first 2 shown]
	s_waitcnt vmcnt(4)
	v_mul_f32_e32 v27, v33, v95
	v_mul_f32_e32 v24, v64, v24
	v_fma_f32 v0, v23, v64, -v0
	v_fmac_f32_e32 v2, v39, v57
	v_fmac_f32_e32 v1, v41, v61
	v_mul_f32_e32 v22, v47, v22
	v_mul_f32_e32 v33, v49, v33
	;; [unrolled: 1-line block ×6, first 2 shown]
	v_fma_f32 v6, v55, v89, -v6
	v_fma_f32 v7, v59, v91, -v7
	v_fmac_f32_e32 v25, v47, v21
	v_fmac_f32_e32 v27, v49, v32
	;; [unrolled: 1-line block ×3, first 2 shown]
	v_sub_f32_e32 v37, v26, v0
	v_sub_f32_e32 v39, v2, v1
	v_fma_f32 v21, v21, v93, -v22
	v_fma_f32 v22, v32, v95, -v33
	v_fmac_f32_e32 v35, v43, v55
	v_fmac_f32_e32 v56, v45, v59
	v_fma_f32 v32, v57, v85, -v58
	v_fma_f32 v33, v61, v87, -v60
	v_sub_f32_e32 v41, v6, v7
	v_sub_f32_e32 v7, v25, v27
	;; [unrolled: 1-line block ×8, first 2 shown]
	v_fma_f32 v60, v20, 2.0, -v45
	v_fma_f32 v20, v37, 2.0, -v47
	v_add_f32_e32 v55, v43, v27
	v_fma_f32 v24, v32, 2.0, -v33
	v_fma_f32 v58, v35, 2.0, -v43
	;; [unrolled: 1-line block ×5, first 2 shown]
	v_mov_b32_e32 v21, v20
	v_add_f32_e32 v56, v45, v33
	v_fma_f32 v26, v26, 2.0, -v37
	v_fmac_f32_e32 v21, 0xbf3504f3, v32
	v_fma_f32 v37, v43, 2.0, -v55
	v_fma_f32 v2, v2, 2.0, -v39
	v_fmac_f32_e32 v21, 0xbf3504f3, v37
	v_fma_f32 v39, v45, 2.0, -v56
	v_fma_f32 v33, v20, 2.0, -v21
	v_mov_b32_e32 v20, v39
	v_sub_f32_e32 v57, v26, v24
	v_sub_f32_e32 v2, v60, v2
	;; [unrolled: 1-line block ×3, first 2 shown]
	v_fmac_f32_e32 v20, 0xbf3504f3, v37
	v_fma_f32 v7, v25, 2.0, -v7
	v_add_f32_e32 v6, v2, v27
	v_fmac_f32_e32 v20, 0x3f3504f3, v32
	v_fma_f32 v26, v26, 2.0, -v57
	v_fma_f32 v27, v35, 2.0, -v27
	v_sub_f32_e32 v59, v58, v7
	v_fma_f32 v32, v39, 2.0, -v20
	v_sub_f32_e32 v27, v26, v27
	ds_read_b32 v39, v34
	v_fma_f32 v24, v2, 2.0, -v6
	v_fma_f32 v35, v26, 2.0, -v27
	;; [unrolled: 1-line block ×4, first 2 shown]
	v_sub_f32_e32 v26, v2, v26
	v_fma_f32 v34, v2, 2.0, -v26
	s_waitcnt vmcnt(1)
	v_mul_f32_e32 v2, v36, v75
	v_fma_f32 v2, v74, v63, -v2
	v_mov_b32_e32 v0, v56
	s_waitcnt lgkmcnt(0)
	v_sub_f32_e32 v41, v39, v2
	s_waitcnt vmcnt(0)
	v_mul_f32_e32 v43, v79, v84
	v_mul_f32_e32 v2, v71, v86
	v_mov_b32_e32 v1, v47
	v_fmac_f32_e32 v0, 0x3f3504f3, v55
	v_fmac_f32_e32 v43, v38, v78
	v_fmac_f32_e32 v2, v40, v70
	v_fmac_f32_e32 v1, 0x3f3504f3, v49
	v_fmac_f32_e32 v0, 0x3f3504f3, v49
	v_sub_f32_e32 v45, v43, v2
	v_mul_i32_i24_e32 v2, 7, v67
	v_fmac_f32_e32 v1, 0xbf3504f3, v55
	v_fma_f32 v22, v56, 2.0, -v0
	v_lshlrev_b64 v[55:56], 3, v[2:3]
	v_sub_f32_e32 v7, v57, v59
	v_add_co_u32_e32 v64, vcc, s6, v55
	v_addc_co_u32_e32 v65, vcc, v65, v56, vcc
	v_fma_f32 v25, v57, 2.0, -v7
	global_load_dwordx4 v[55:58], v[64:65], off offset:4048
	global_load_dwordx4 v[59:62], v[64:65], off offset:4032
	global_load_dwordx2 v[98:99], v[64:65], off offset:4080
	global_load_dwordx4 v[80:83], v[64:65], off offset:4064
	v_mul_f32_e32 v37, v42, v77
	v_fma_f32 v2, v76, v88, -v37
	v_mul_f32_e32 v37, v44, v69
	v_fma_f32 v37, v68, v90, -v37
	v_mul_f32_e32 v67, v88, v77
	v_sub_f32_e32 v49, v2, v37
	v_mul_f32_e32 v51, v73, v92
	v_mul_f32_e32 v37, v97, v94
	v_fmac_f32_e32 v67, v42, v76
	v_mul_f32_e32 v42, v90, v69
	v_mul_f32_e32 v38, v38, v79
	;; [unrolled: 1-line block ×4, first 2 shown]
	v_fmac_f32_e32 v51, v46, v72
	v_fmac_f32_e32 v37, v48, v96
	v_mul_f32_e32 v46, v46, v73
	v_mul_f32_e32 v48, v48, v97
	v_fmac_f32_e32 v42, v44, v68
	v_fma_f32 v38, v78, v84, -v38
	v_fma_f32 v40, v70, v86, -v40
	v_fmac_f32_e32 v63, v36, v74
	v_sub_f32_e32 v65, v51, v37
	v_fma_f32 v46, v72, v92, -v46
	v_fma_f32 v48, v96, v94, -v48
	v_sub_f32_e32 v42, v67, v42
	v_sub_f32_e32 v40, v38, v40
	;; [unrolled: 1-line block ×4, first 2 shown]
	v_add_f32_e32 v73, v71, v40
	v_fma_f32 v39, v39, 2.0, -v41
	v_fma_f32 v38, v38, 2.0, -v40
	v_fma_f32 v40, v67, 2.0, -v42
	v_fma_f32 v51, v51, 2.0, -v65
	v_fma_f32 v23, v47, 2.0, -v1
	v_sub_f32_e32 v47, v41, v45
	v_sub_f32_e32 v38, v39, v38
	;; [unrolled: 1-line block ×3, first 2 shown]
	v_fma_f32 v43, v43, 2.0, -v45
	v_fma_f32 v2, v2, 2.0, -v49
	;; [unrolled: 1-line block ×3, first 2 shown]
	ds_read2st64_b32 v[86:87], v50 offset0:16 offset1:18
	ds_read2st64_b32 v[88:89], v50 offset0:48 offset1:50
	v_sub_f32_e32 v68, v38, v51
	v_sub_f32_e32 v45, v2, v45
	;; [unrolled: 1-line block ×3, first 2 shown]
	v_fma_f32 v70, v38, 2.0, -v68
	v_fma_f32 v54, v54, 2.0, -v71
	;; [unrolled: 1-line block ×5, first 2 shown]
	v_add_f32_e32 v44, v42, v48
	v_sub_f32_e32 v43, v54, v43
	v_fma_f32 v46, v49, 2.0, -v85
	v_mov_b32_e32 v72, v41
	v_sub_f32_e32 v76, v38, v2
	ds_read2st64_b32 v[90:91], v50 offset0:8 offset1:10
	v_fmac_f32_e32 v72, 0xbf3504f3, v46
	v_fma_f32 v42, v42, 2.0, -v44
	v_fma_f32 v78, v38, 2.0, -v76
	;; [unrolled: 1-line block ×4, first 2 shown]
	v_fmac_f32_e32 v72, 0xbf3504f3, v42
	v_sub_f32_e32 v75, v2, v38
	v_fma_f32 v74, v41, 2.0, -v72
	v_fma_f32 v41, v71, 2.0, -v73
	v_mov_b32_e32 v37, v47
	v_mov_b32_e32 v36, v73
	;; [unrolled: 1-line block ×3, first 2 shown]
	v_fmac_f32_e32 v37, 0x3f3504f3, v85
	v_fmac_f32_e32 v36, 0x3f3504f3, v44
	;; [unrolled: 1-line block ×5, first 2 shown]
	v_add_f32_e32 v67, v43, v45
	v_fmac_f32_e32 v71, 0x3f3504f3, v46
	v_fma_f32 v64, v47, 2.0, -v37
	v_fma_f32 v63, v73, 2.0, -v36
	s_waitcnt vmcnt(2) lgkmcnt(2)
	v_mul_f32_e32 v65, v62, v87
	v_fmac_f32_e32 v65, v9, v61
	s_waitcnt vmcnt(0) lgkmcnt(1)
	v_mul_f32_e32 v38, v83, v89
	v_fmac_f32_e32 v38, v11, v82
	v_sub_f32_e32 v79, v65, v38
	v_mul_f32_e32 v38, v13, v60
	s_waitcnt lgkmcnt(0)
	v_fma_f32 v104, v59, v91, -v38
	v_mul_u32_u24_e32 v38, 7, v66
	v_lshlrev_b32_e32 v51, 3, v38
	v_fma_f32 v69, v43, 2.0, -v67
	v_fma_f32 v73, v41, 2.0, -v71
	ds_read2st64_b32 v[84:85], v50 offset0:32 offset1:34
	global_load_dwordx4 v[38:41], v51, s[6:7] offset:4048
	ds_read2st64_b32 v[92:93], v50 offset0:40 offset1:42
	ds_read2st64_b32 v[94:95], v50 offset0:24 offset1:26
	global_load_dwordx4 v[42:45], v51, s[6:7] offset:4032
	global_load_dwordx2 v[96:97], v51, s[6:7] offset:4080
	global_load_dwordx4 v[46:49], v51, s[6:7] offset:4064
	ds_read2st64_b32 v[50:51], v50 offset0:56 offset1:58
	v_mul_f32_e32 v54, v15, v81
	s_waitcnt lgkmcnt(2)
	v_fma_f32 v54, v80, v93, -v54
	v_sub_f32_e32 v105, v104, v54
	v_fma_f32 v77, v2, 2.0, -v75
	s_waitcnt lgkmcnt(0)
	v_mul_f32_e32 v54, v99, v51
	v_mul_f32_e32 v2, v5, v58
	;; [unrolled: 1-line block ×3, first 2 shown]
	v_fmac_f32_e32 v54, v19, v98
	v_mul_f32_e32 v19, v19, v99
	v_fma_f32 v2, v57, v85, -v2
	v_fmac_f32_e32 v106, v17, v55
	v_fma_f32 v19, v98, v51, -v19
	v_mul_f32_e32 v51, v91, v60
	v_sub_f32_e32 v2, v101, v2
	v_sub_f32_e32 v107, v106, v54
	v_mul_f32_e32 v17, v17, v56
	v_fmac_f32_e32 v51, v13, v59
	v_mul_f32_e32 v13, v93, v81
	v_mul_f32_e32 v9, v9, v62
	;; [unrolled: 1-line block ×4, first 2 shown]
	v_sub_f32_e32 v102, v2, v79
	v_fma_f32 v17, v55, v95, -v17
	v_fmac_f32_e32 v13, v15, v80
	v_fma_f32 v9, v61, v87, -v9
	v_fma_f32 v11, v82, v89, -v11
	v_fmac_f32_e32 v54, v5, v57
	v_sub_f32_e32 v108, v105, v107
	v_sub_f32_e32 v19, v17, v19
	;; [unrolled: 1-line block ×5, first 2 shown]
	v_fma_f32 v62, v101, 2.0, -v2
	v_fma_f32 v2, v2, 2.0, -v102
	v_add_f32_e32 v15, v13, v19
	v_add_f32_e32 v60, v5, v11
	v_fma_f32 v17, v17, 2.0, -v19
	v_fma_f32 v19, v105, 2.0, -v108
	v_mov_b32_e32 v61, v2
	v_mov_b32_e32 v99, v60
	v_fma_f32 v9, v9, 2.0, -v11
	v_fma_f32 v11, v51, 2.0, -v13
	v_fmac_f32_e32 v61, 0xbf3504f3, v19
	v_fma_f32 v13, v13, 2.0, -v15
	v_fmac_f32_e32 v99, 0x3f3504f3, v15
	v_fmac_f32_e32 v61, 0xbf3504f3, v13
	;; [unrolled: 1-line block ×3, first 2 shown]
	v_fma_f32 v80, v2, 2.0, -v61
	v_fma_f32 v2, v5, 2.0, -v60
	;; [unrolled: 1-line block ×3, first 2 shown]
	v_mov_b32_e32 v60, v2
	v_fma_f32 v81, v104, 2.0, -v105
	v_fmac_f32_e32 v60, 0xbf3504f3, v13
	v_mov_b32_e32 v100, v102
	v_sub_f32_e32 v9, v62, v9
	v_sub_f32_e32 v17, v81, v17
	v_fmac_f32_e32 v60, 0x3f3504f3, v19
	v_fmac_f32_e32 v100, 0x3f3504f3, v108
	v_fma_f32 v51, v106, 2.0, -v107
	v_fma_f32 v53, v53, 2.0, -v5
	;; [unrolled: 1-line block ×6, first 2 shown]
	v_fmac_f32_e32 v100, 0xbf3504f3, v15
	v_sub_f32_e32 v51, v11, v51
	v_sub_f32_e32 v65, v53, v56
	;; [unrolled: 1-line block ×3, first 2 shown]
	v_fma_f32 v55, v102, 2.0, -v100
	v_fma_f32 v102, v2, 2.0, -v82
	;; [unrolled: 1-line block ×4, first 2 shown]
	v_sub_f32_e32 v57, v9, v51
	v_sub_f32_e32 v81, v2, v5
	v_fma_f32 v59, v9, 2.0, -v57
	v_add_f32_e32 v56, v65, v17
	s_waitcnt vmcnt(2)
	v_mul_f32_e32 v15, v45, v86
	v_fmac_f32_e32 v15, v8, v44
	s_waitcnt vmcnt(0)
	v_mul_f32_e32 v5, v49, v88
	v_fmac_f32_e32 v5, v10, v48
	v_mul_f32_e32 v11, v39, v94
	v_mul_f32_e32 v9, v16, v39
	v_sub_f32_e32 v17, v15, v5
	v_mul_f32_e32 v5, v12, v43
	v_fmac_f32_e32 v11, v16, v38
	v_fma_f32 v16, v38, v94, -v9
	v_mul_f32_e32 v38, v90, v43
	v_mul_f32_e32 v8, v8, v45
	v_fma_f32 v51, v42, v90, -v5
	v_mul_f32_e32 v5, v14, v47
	v_fmac_f32_e32 v38, v12, v42
	v_fma_f32 v12, v44, v86, -v8
	v_mul_f32_e32 v8, v10, v49
	v_fma_f32 v5, v46, v92, -v5
	v_mul_f32_e32 v9, v18, v97
	v_fma_f32 v8, v48, v88, -v8
	v_fma_f32 v101, v2, 2.0, -v81
	v_mul_f32_e32 v2, v4, v41
	v_sub_f32_e32 v53, v51, v5
	v_mul_f32_e32 v5, v97, v50
	v_fma_f32 v9, v96, v50, -v9
	v_sub_f32_e32 v10, v12, v8
	v_mul_f32_e32 v8, v84, v41
	v_fma_f32 v2, v40, v84, -v2
	v_fmac_f32_e32 v5, v18, v96
	v_sub_f32_e32 v18, v16, v9
	v_mul_f32_e32 v9, v92, v47
	v_fmac_f32_e32 v8, v4, v40
	v_sub_f32_e32 v2, v103, v2
	v_fmac_f32_e32 v9, v14, v46
	v_sub_f32_e32 v40, v52, v8
	v_sub_f32_e32 v19, v2, v17
	;; [unrolled: 1-line block ×4, first 2 shown]
	v_add_f32_e32 v41, v40, v10
	v_fma_f32 v42, v103, 2.0, -v2
	v_fma_f32 v10, v12, 2.0, -v10
	v_sub_f32_e32 v62, v53, v13
	v_mov_b32_e32 v5, v19
	v_sub_f32_e32 v43, v42, v10
	v_fma_f32 v38, v38, 2.0, -v14
	v_fma_f32 v10, v11, 2.0, -v13
	v_fmac_f32_e32 v5, 0x3f3504f3, v62
	v_add_f32_e32 v39, v14, v18
	v_sub_f32_e32 v44, v38, v10
	v_fma_f32 v45, v52, 2.0, -v40
	v_fma_f32 v10, v15, 2.0, -v17
	;; [unrolled: 1-line block ×3, first 2 shown]
	v_fmac_f32_e32 v5, 0xbf3504f3, v39
	v_sub_f32_e32 v46, v45, v10
	v_fma_f32 v10, v16, 2.0, -v18
	v_fma_f32 v16, v53, 2.0, -v62
	v_mov_b32_e32 v15, v2
	v_fma_f32 v9, v19, 2.0, -v5
	v_fmac_f32_e32 v15, 0xbf3504f3, v16
	v_fma_f32 v19, v14, 2.0, -v39
	v_fmac_f32_e32 v15, 0xbf3504f3, v19
	v_fma_f32 v17, v2, 2.0, -v15
	v_fma_f32 v2, v40, 2.0, -v41
	v_mov_b32_e32 v14, v2
	v_fma_f32 v47, v51, 2.0, -v53
	v_fmac_f32_e32 v14, 0xbf3504f3, v19
	v_sub_f32_e32 v18, v47, v10
	v_fmac_f32_e32 v14, 0x3f3504f3, v16
	v_add_f32_e32 v10, v46, v18
	v_fma_f32 v16, v2, 2.0, -v14
	v_fma_f32 v2, v42, 2.0, -v43
	;; [unrolled: 1-line block ×3, first 2 shown]
	v_mov_b32_e32 v4, v41
	v_sub_f32_e32 v19, v2, v18
	v_fmac_f32_e32 v4, 0x3f3504f3, v39
	v_fma_f32 v39, v2, 2.0, -v19
	v_fma_f32 v2, v45, 2.0, -v46
	;; [unrolled: 1-line block ×3, first 2 shown]
	v_sub_f32_e32 v18, v2, v18
	v_fma_f32 v38, v2, 2.0, -v18
	v_mov_b32_e32 v2, s5
	v_add_co_u32_e32 v30, vcc, s4, v30
	v_addc_co_u32_e32 v2, vcc, v2, v31, vcc
	v_add_co_u32_e32 v30, vcc, v30, v28
	v_addc_co_u32_e32 v31, vcc, v2, v29, vcc
	v_lshlrev_b32_e32 v2, 3, v66
	v_and_b32_e32 v2, 0xff8, v2
	v_add_co_u32_e32 v28, vcc, v30, v2
	v_addc_co_u32_e32 v29, vcc, 0, v31, vcc
	global_store_dwordx2 v[28:29], v[38:39], off
	v_or_b32_e32 v28, 0x1000, v2
	v_add_co_u32_e32 v28, vcc, v30, v28
	v_addc_co_u32_e32 v29, vcc, 0, v31, vcc
	global_store_dwordx2 v[28:29], v[16:17], off
	v_or_b32_e32 v16, 0x2000, v2
	v_sub_f32_e32 v11, v43, v44
	v_add_co_u32_e32 v16, vcc, v30, v16
	v_fma_f32 v13, v43, 2.0, -v11
	v_fma_f32 v12, v46, 2.0, -v10
	v_addc_co_u32_e32 v17, vcc, 0, v31, vcc
	global_store_dwordx2 v[16:17], v[12:13], off
	v_or_b32_e32 v12, 0x3000, v2
	v_fmac_f32_e32 v4, 0x3f3504f3, v62
	v_add_co_u32_e32 v12, vcc, v30, v12
	v_fma_f32 v8, v41, 2.0, -v4
	v_addc_co_u32_e32 v13, vcc, 0, v31, vcc
	global_store_dwordx2 v[12:13], v[8:9], off
	v_or_b32_e32 v8, 0x4000, v2
	v_add_co_u32_e32 v8, vcc, v30, v8
	v_addc_co_u32_e32 v9, vcc, 0, v31, vcc
	global_store_dwordx2 v[8:9], v[18:19], off
	v_or_b32_e32 v8, 0x5000, v2
	v_add_co_u32_e32 v8, vcc, v30, v8
	;; [unrolled: 4-line block ×3, first 2 shown]
	v_addc_co_u32_e32 v9, vcc, 0, v31, vcc
	v_or_b32_e32 v2, 0x7000, v2
	global_store_dwordx2 v[8:9], v[10:11], off
	v_add_co_u32_e32 v8, vcc, v30, v2
	v_addc_co_u32_e32 v9, vcc, 0, v31, vcc
	v_add_u32_e32 v2, 0x80, v66
	global_store_dwordx2 v[8:9], v[4:5], off
	v_lshlrev_b32_e32 v4, 3, v2
	v_and_b32_e32 v2, 0x1ff, v2
	v_and_or_b32 v2, v4, s0, v2
	v_lshlrev_b64 v[4:5], 3, v[2:3]
	v_fma_f32 v58, v65, 2.0, -v56
	v_add_co_u32_e32 v4, vcc, v30, v4
	v_addc_co_u32_e32 v5, vcc, v31, v5, vcc
	global_store_dwordx2 v[4:5], v[101:102], off
	v_or_b32_e32 v4, 0x200, v2
	v_mov_b32_e32 v5, v3
	v_lshlrev_b64 v[4:5], 3, v[4:5]
	v_add_co_u32_e32 v4, vcc, v30, v4
	v_addc_co_u32_e32 v5, vcc, v31, v5, vcc
	global_store_dwordx2 v[4:5], v[79:80], off
	v_or_b32_e32 v4, 0x400, v2
	v_mov_b32_e32 v5, v3
	v_lshlrev_b64 v[4:5], 3, v[4:5]
	;; [unrolled: 6-line block ×6, first 2 shown]
	v_or_b32_e32 v2, 0xe00, v2
	v_add_co_u32_e32 v4, vcc, v30, v4
	v_addc_co_u32_e32 v5, vcc, v31, v5, vcc
	global_store_dwordx2 v[4:5], v[56:57], off
	v_lshlrev_b64 v[4:5], 3, v[2:3]
	v_add_u32_e32 v2, 0x100, v66
	v_add_co_u32_e32 v4, vcc, v30, v4
	v_addc_co_u32_e32 v5, vcc, v31, v5, vcc
	global_store_dwordx2 v[4:5], v[99:100], off
	v_lshlrev_b32_e32 v4, 3, v2
	v_and_b32_e32 v2, 0x1ff, v2
	v_and_or_b32 v2, v4, s0, v2
	v_lshlrev_b64 v[4:5], 3, v[2:3]
	v_add_co_u32_e32 v4, vcc, v30, v4
	v_addc_co_u32_e32 v5, vcc, v31, v5, vcc
	global_store_dwordx2 v[4:5], v[77:78], off
	v_or_b32_e32 v4, 0x200, v2
	v_mov_b32_e32 v5, v3
	v_lshlrev_b64 v[4:5], 3, v[4:5]
	v_add_co_u32_e32 v4, vcc, v30, v4
	v_addc_co_u32_e32 v5, vcc, v31, v5, vcc
	global_store_dwordx2 v[4:5], v[73:74], off
	v_or_b32_e32 v4, 0x400, v2
	v_mov_b32_e32 v5, v3
	;; [unrolled: 6-line block ×6, first 2 shown]
	v_lshlrev_b64 v[4:5], 3, v[4:5]
	v_or_b32_e32 v2, 0xe00, v2
	v_add_co_u32_e32 v4, vcc, v30, v4
	v_addc_co_u32_e32 v5, vcc, v31, v5, vcc
	global_store_dwordx2 v[4:5], v[67:68], off
	v_lshlrev_b64 v[4:5], 3, v[2:3]
	v_add_u32_e32 v2, 0x180, v66
	v_add_co_u32_e32 v4, vcc, v30, v4
	v_addc_co_u32_e32 v5, vcc, v31, v5, vcc
	global_store_dwordx2 v[4:5], v[36:37], off
	v_lshlrev_b32_e32 v4, 3, v2
	v_and_b32_e32 v2, 0x1ff, v2
	v_and_or_b32 v2, v4, s0, v2
	v_lshlrev_b64 v[4:5], 3, v[2:3]
	v_add_co_u32_e32 v4, vcc, v30, v4
	v_addc_co_u32_e32 v5, vcc, v31, v5, vcc
	global_store_dwordx2 v[4:5], v[34:35], off
	v_or_b32_e32 v4, 0x200, v2
	v_mov_b32_e32 v5, v3
	v_lshlrev_b64 v[4:5], 3, v[4:5]
	v_add_co_u32_e32 v4, vcc, v30, v4
	v_addc_co_u32_e32 v5, vcc, v31, v5, vcc
	global_store_dwordx2 v[4:5], v[32:33], off
	v_or_b32_e32 v4, 0x400, v2
	v_mov_b32_e32 v5, v3
	;; [unrolled: 6-line block ×6, first 2 shown]
	v_lshlrev_b64 v[4:5], 3, v[4:5]
	v_or_b32_e32 v2, 0xe00, v2
	v_add_co_u32_e32 v4, vcc, v30, v4
	v_lshlrev_b64 v[2:3], 3, v[2:3]
	v_addc_co_u32_e32 v5, vcc, v31, v5, vcc
	v_add_co_u32_e32 v2, vcc, v30, v2
	v_addc_co_u32_e32 v3, vcc, v31, v3, vcc
	global_store_dwordx2 v[4:5], v[6:7], off
	global_store_dwordx2 v[2:3], v[0:1], off
.LBB0_8:
	s_endpgm
	.section	.rodata,"a",@progbits
	.p2align	6, 0x0
	.amdhsa_kernel fft_rtc_back_len4096_factors_8_16_4_8_wgs_256_tpt_128_halfLds_dim2_sp_op_CI_CI_unitstride_sbrr_dirReg
		.amdhsa_group_segment_fixed_size 0
		.amdhsa_private_segment_fixed_size 0
		.amdhsa_kernarg_size 96
		.amdhsa_user_sgpr_count 6
		.amdhsa_user_sgpr_private_segment_buffer 1
		.amdhsa_user_sgpr_dispatch_ptr 0
		.amdhsa_user_sgpr_queue_ptr 0
		.amdhsa_user_sgpr_kernarg_segment_ptr 1
		.amdhsa_user_sgpr_dispatch_id 0
		.amdhsa_user_sgpr_flat_scratch_init 0
		.amdhsa_user_sgpr_private_segment_size 0
		.amdhsa_uses_dynamic_stack 0
		.amdhsa_system_sgpr_private_segment_wavefront_offset 0
		.amdhsa_system_sgpr_workgroup_id_x 1
		.amdhsa_system_sgpr_workgroup_id_y 0
		.amdhsa_system_sgpr_workgroup_id_z 0
		.amdhsa_system_sgpr_workgroup_info 0
		.amdhsa_system_vgpr_workitem_id 0
		.amdhsa_next_free_vgpr 127
		.amdhsa_next_free_sgpr 16
		.amdhsa_reserve_vcc 1
		.amdhsa_reserve_flat_scratch 0
		.amdhsa_float_round_mode_32 0
		.amdhsa_float_round_mode_16_64 0
		.amdhsa_float_denorm_mode_32 3
		.amdhsa_float_denorm_mode_16_64 3
		.amdhsa_dx10_clamp 1
		.amdhsa_ieee_mode 1
		.amdhsa_fp16_overflow 0
		.amdhsa_exception_fp_ieee_invalid_op 0
		.amdhsa_exception_fp_denorm_src 0
		.amdhsa_exception_fp_ieee_div_zero 0
		.amdhsa_exception_fp_ieee_overflow 0
		.amdhsa_exception_fp_ieee_underflow 0
		.amdhsa_exception_fp_ieee_inexact 0
		.amdhsa_exception_int_div_zero 0
	.end_amdhsa_kernel
	.text
.Lfunc_end0:
	.size	fft_rtc_back_len4096_factors_8_16_4_8_wgs_256_tpt_128_halfLds_dim2_sp_op_CI_CI_unitstride_sbrr_dirReg, .Lfunc_end0-fft_rtc_back_len4096_factors_8_16_4_8_wgs_256_tpt_128_halfLds_dim2_sp_op_CI_CI_unitstride_sbrr_dirReg
                                        ; -- End function
	.section	.AMDGPU.csdata,"",@progbits
; Kernel info:
; codeLenInByte = 13136
; NumSgprs: 20
; NumVgprs: 127
; ScratchSize: 0
; MemoryBound: 0
; FloatMode: 240
; IeeeMode: 1
; LDSByteSize: 0 bytes/workgroup (compile time only)
; SGPRBlocks: 2
; VGPRBlocks: 31
; NumSGPRsForWavesPerEU: 20
; NumVGPRsForWavesPerEU: 127
; Occupancy: 2
; WaveLimiterHint : 1
; COMPUTE_PGM_RSRC2:SCRATCH_EN: 0
; COMPUTE_PGM_RSRC2:USER_SGPR: 6
; COMPUTE_PGM_RSRC2:TRAP_HANDLER: 0
; COMPUTE_PGM_RSRC2:TGID_X_EN: 1
; COMPUTE_PGM_RSRC2:TGID_Y_EN: 0
; COMPUTE_PGM_RSRC2:TGID_Z_EN: 0
; COMPUTE_PGM_RSRC2:TIDIG_COMP_CNT: 0
	.type	__hip_cuid_d037317c56409c61,@object ; @__hip_cuid_d037317c56409c61
	.section	.bss,"aw",@nobits
	.globl	__hip_cuid_d037317c56409c61
__hip_cuid_d037317c56409c61:
	.byte	0                               ; 0x0
	.size	__hip_cuid_d037317c56409c61, 1

	.ident	"AMD clang version 19.0.0git (https://github.com/RadeonOpenCompute/llvm-project roc-6.4.0 25133 c7fe45cf4b819c5991fe208aaa96edf142730f1d)"
	.section	".note.GNU-stack","",@progbits
	.addrsig
	.addrsig_sym __hip_cuid_d037317c56409c61
	.amdgpu_metadata
---
amdhsa.kernels:
  - .args:
      - .actual_access:  read_only
        .address_space:  global
        .offset:         0
        .size:           8
        .value_kind:     global_buffer
      - .actual_access:  read_only
        .address_space:  global
        .offset:         8
        .size:           8
        .value_kind:     global_buffer
      - .actual_access:  read_only
        .address_space:  global
        .offset:         16
        .size:           8
        .value_kind:     global_buffer
      - .actual_access:  read_only
        .address_space:  global
        .offset:         24
        .size:           8
        .value_kind:     global_buffer
      - .offset:         32
        .size:           8
        .value_kind:     by_value
      - .actual_access:  read_only
        .address_space:  global
        .offset:         40
        .size:           8
        .value_kind:     global_buffer
      - .actual_access:  read_only
        .address_space:  global
        .offset:         48
        .size:           8
        .value_kind:     global_buffer
      - .offset:         56
        .size:           4
        .value_kind:     by_value
      - .actual_access:  read_only
        .address_space:  global
        .offset:         64
        .size:           8
        .value_kind:     global_buffer
      - .actual_access:  read_only
        .address_space:  global
        .offset:         72
        .size:           8
        .value_kind:     global_buffer
      - .actual_access:  read_only
        .address_space:  global
        .offset:         80
        .size:           8
        .value_kind:     global_buffer
      - .actual_access:  write_only
        .address_space:  global
        .offset:         88
        .size:           8
        .value_kind:     global_buffer
    .group_segment_fixed_size: 0
    .kernarg_segment_align: 8
    .kernarg_segment_size: 96
    .language:       OpenCL C
    .language_version:
      - 2
      - 0
    .max_flat_workgroup_size: 256
    .name:           fft_rtc_back_len4096_factors_8_16_4_8_wgs_256_tpt_128_halfLds_dim2_sp_op_CI_CI_unitstride_sbrr_dirReg
    .private_segment_fixed_size: 0
    .sgpr_count:     20
    .sgpr_spill_count: 0
    .symbol:         fft_rtc_back_len4096_factors_8_16_4_8_wgs_256_tpt_128_halfLds_dim2_sp_op_CI_CI_unitstride_sbrr_dirReg.kd
    .uniform_work_group_size: 1
    .uses_dynamic_stack: false
    .vgpr_count:     127
    .vgpr_spill_count: 0
    .wavefront_size: 64
amdhsa.target:   amdgcn-amd-amdhsa--gfx906
amdhsa.version:
  - 1
  - 2
...

	.end_amdgpu_metadata
